;; amdgpu-corpus repo=ROCm/rocFFT kind=compiled arch=gfx1201 opt=O3
	.text
	.amdgcn_target "amdgcn-amd-amdhsa--gfx1201"
	.amdhsa_code_object_version 6
	.protected	bluestein_single_back_len1734_dim1_sp_op_CI_CI ; -- Begin function bluestein_single_back_len1734_dim1_sp_op_CI_CI
	.globl	bluestein_single_back_len1734_dim1_sp_op_CI_CI
	.p2align	8
	.type	bluestein_single_back_len1734_dim1_sp_op_CI_CI,@function
bluestein_single_back_len1734_dim1_sp_op_CI_CI: ; @bluestein_single_back_len1734_dim1_sp_op_CI_CI
; %bb.0:
	s_load_b128 s[16:19], s[0:1], 0x28
	v_mul_u32_u24_e32 v1, 0x283, v0
	s_mov_b32 s2, exec_lo
	v_mov_b32_e32 v5, 0
	s_delay_alu instid0(VALU_DEP_2) | instskip(NEXT) | instid1(VALU_DEP_1)
	v_lshrrev_b32_e32 v1, 16, v1
	v_add_nc_u32_e32 v4, ttmp9, v1
	s_wait_kmcnt 0x0
	s_delay_alu instid0(VALU_DEP_1)
	v_cmpx_gt_u64_e64 s[16:17], v[4:5]
	s_cbranch_execz .LBB0_10
; %bb.1:
	s_clause 0x1
	s_load_b128 s[4:7], s[0:1], 0x18
	s_load_b128 s[8:11], s[0:1], 0x0
	v_mul_lo_u16 v1, 0x66, v1
	s_delay_alu instid0(VALU_DEP_1) | instskip(NEXT) | instid1(VALU_DEP_1)
	v_sub_nc_u16 v115, v0, v1
	v_and_b32_e32 v7, 0xffff, v115
	s_delay_alu instid0(VALU_DEP_1)
	v_lshlrev_b32_e32 v135, 3, v7
	v_mov_b32_e32 v5, v4
	scratch_store_b32 off, v7, off          ; 4-byte Folded Spill
	s_wait_kmcnt 0x0
	s_load_b128 s[12:15], s[4:5], 0x0
	v_add_nc_u32_e32 v56, 0x400, v135
	scratch_store_b64 off, v[5:6], off offset:4 ; 8-byte Folded Spill
	s_clause 0xe
	global_load_b64 v[107:108], v135, s[8:9]
	global_load_b64 v[113:114], v135, s[8:9] offset:816
	global_load_b64 v[40:41], v135, s[8:9] offset:1632
	;; [unrolled: 1-line block ×14, first 2 shown]
	v_add_nc_u32_e32 v60, 0x800, v135
	v_add_nc_u32_e32 v62, 0x1800, v135
	s_wait_kmcnt 0x0
	v_mad_co_u64_u32 v[0:1], null, s14, v4, 0
	v_mad_co_u64_u32 v[2:3], null, s12, v7, 0
	s_mul_u64 s[2:3], s[12:13], 0x330
	s_delay_alu instid0(VALU_DEP_1) | instskip(NEXT) | instid1(VALU_DEP_1)
	v_mad_co_u64_u32 v[4:5], null, s15, v4, v[1:2]
	v_mad_co_u64_u32 v[5:6], null, s13, v7, v[3:4]
	v_mov_b32_e32 v1, v4
	s_delay_alu instid0(VALU_DEP_1) | instskip(NEXT) | instid1(VALU_DEP_3)
	v_lshlrev_b64_e32 v[0:1], 3, v[0:1]
	v_mov_b32_e32 v3, v5
	s_delay_alu instid0(VALU_DEP_2) | instskip(NEXT) | instid1(VALU_DEP_2)
	v_add_co_u32 v0, vcc_lo, s18, v0
	v_lshlrev_b64_e32 v[2:3], 3, v[2:3]
	s_delay_alu instid0(VALU_DEP_4) | instskip(NEXT) | instid1(VALU_DEP_2)
	v_add_co_ci_u32_e32 v1, vcc_lo, s19, v1, vcc_lo
	v_add_co_u32 v0, vcc_lo, v0, v2
	s_wait_alu 0xfffd
	s_delay_alu instid0(VALU_DEP_2) | instskip(NEXT) | instid1(VALU_DEP_2)
	v_add_co_ci_u32_e32 v1, vcc_lo, v1, v3, vcc_lo
	v_add_co_u32 v2, vcc_lo, v0, s2
	s_wait_alu 0xfffd
	s_delay_alu instid0(VALU_DEP_2) | instskip(NEXT) | instid1(VALU_DEP_2)
	;; [unrolled: 4-line block ×4, first 2 shown]
	v_add_co_ci_u32_e32 v7, vcc_lo, s3, v5, vcc_lo
	v_add_co_u32 v8, vcc_lo, v6, s2
	s_wait_alu 0xfffd
	s_delay_alu instid0(VALU_DEP_2)
	v_add_co_ci_u32_e32 v9, vcc_lo, s3, v7, vcc_lo
	s_clause 0x3
	global_load_b64 v[0:1], v[0:1], off
	global_load_b64 v[2:3], v[2:3], off
	;; [unrolled: 1-line block ×4, first 2 shown]
	v_add_co_u32 v10, vcc_lo, v8, s2
	s_wait_alu 0xfffd
	v_add_co_ci_u32_e32 v11, vcc_lo, s3, v9, vcc_lo
	global_load_b64 v[8:9], v[8:9], off
	v_add_co_u32 v12, vcc_lo, v10, s2
	s_wait_alu 0xfffd
	v_add_co_ci_u32_e32 v13, vcc_lo, s3, v11, vcc_lo
	global_load_b64 v[10:11], v[10:11], off
	;; [unrolled: 4-line block ×11, first 2 shown]
	v_add_co_u32 v32, vcc_lo, v30, s2
	s_wait_alu 0xfffd
	v_add_co_ci_u32_e32 v33, vcc_lo, s3, v31, vcc_lo
	s_load_b64 s[2:3], s[0:1], 0x38
	v_cmp_gt_u16_e32 vcc_lo, 0x55, v115
	s_wait_loadcnt 0xe
	v_mul_f32_e32 v34, v1, v108
	s_wait_loadcnt 0xd
	v_mul_f32_e32 v36, v3, v114
	global_load_b64 v[109:110], v135, s[8:9] offset:12240
	global_load_b64 v[30:31], v[30:31], off
	global_load_b64 v[111:112], v135, s[8:9] offset:13056
	global_load_b64 v[32:33], v[32:33], off
	v_dual_mul_f32 v35, v0, v108 :: v_dual_add_nc_u32 v58, 0x2400, v135
	v_dual_fmac_f32 v36, v2, v113 :: v_dual_add_nc_u32 v61, 0x1000, v135
	v_add_nc_u32_e32 v57, 0x1c00, v135
	s_wait_loadcnt 0x10
	v_dual_mul_f32 v38, v4, v41 :: v_dual_add_nc_u32 v59, 0x2800, v135
	v_fmac_f32_e32 v34, v0, v107
	v_fma_f32 v35, v1, v107, -v35
	v_dual_mul_f32 v1, v2, v114 :: v_dual_mul_f32 v0, v5, v41
	s_wait_loadcnt 0xf
	v_mul_f32_e32 v2, v7, v43
	v_mul_f32_e32 v39, v6, v43
	s_load_b128 s[4:7], s[6:7], 0x0
	v_fma_f32 v37, v3, v113, -v1
	v_fmac_f32_e32 v0, v4, v40
	v_fma_f32 v1, v5, v40, -v38
	v_fma_f32 v3, v7, v42, -v39
	s_wait_loadcnt 0xe
	v_mul_f32_e32 v4, v9, v94
	v_mul_f32_e32 v5, v8, v94
	v_fmac_f32_e32 v2, v6, v42
	s_wait_loadcnt 0xd
	v_mul_f32_e32 v6, v11, v98
	ds_store_2addr_b64 v135, v[34:35], v[36:37] offset1:102
	v_fmac_f32_e32 v4, v8, v93
	v_fma_f32 v5, v9, v93, -v5
	s_wait_loadcnt 0xb
	v_mul_f32_e32 v8, v14, v96
	s_wait_loadcnt 0xa
	v_dual_fmac_f32 v6, v10, v97 :: v_dual_mul_f32 v9, v16, v104
	ds_store_2addr_b64 v56, v[0:1], v[2:3] offset0:76 offset1:178
	v_mul_f32_e32 v3, v12, v90
	v_mul_f32_e32 v1, v10, v98
	;; [unrolled: 1-line block ×4, first 2 shown]
	v_fma_f32 v9, v17, v103, -v9
	s_clause 0x2
	scratch_store_b64 off, v[40:41], off offset:12
	scratch_store_b64 off, v[42:43], off offset:20
	;; [unrolled: 1-line block ×3, first 2 shown]
	v_fma_f32 v7, v11, v97, -v1
	v_fma_f32 v1, v13, v89, -v3
	v_fmac_f32_e32 v2, v14, v95
	v_fma_f32 v3, v15, v95, -v8
	v_mul_f32_e32 v8, v17, v104
	ds_store_2addr_b64 v60, v[4:5], v[6:7] offset0:152 offset1:254
	s_wait_loadcnt 0x7
	v_dual_mul_f32 v7, v22, v100 :: v_dual_mul_f32 v4, v19, v102
	s_wait_loadcnt 0x6
	v_mul_f32_e32 v6, v25, v45
	s_wait_loadcnt 0x5
	v_dual_fmac_f32 v8, v16, v103 :: v_dual_mul_f32 v11, v26, v92
	v_fmac_f32_e32 v0, v12, v89
	v_mul_f32_e32 v10, v27, v92
	v_fmac_f32_e32 v6, v24, v44
	s_wait_loadcnt 0x4
	v_mul_f32_e32 v13, v28, v88
	v_mul_f32_e32 v12, v29, v88
	v_fmac_f32_e32 v10, v26, v91
	v_fma_f32 v11, v27, v91, -v11
	s_delay_alu instid0(VALU_DEP_4)
	v_fma_f32 v13, v29, v87, -v13
	s_wait_loadcnt 0x2
	v_dual_fmac_f32 v12, v28, v87 :: v_dual_mul_f32 v15, v30, v110
	ds_store_2addr_b64 v61, v[0:1], v[2:3] offset0:100 offset1:202
	v_mul_f32_e32 v1, v18, v102
	v_mul_f32_e32 v3, v20, v106
	v_mul_f32_e32 v0, v21, v106
	v_mul_f32_e32 v2, v23, v100
	v_mul_f32_e32 v14, v31, v110
	v_fma_f32 v5, v19, v101, -v1
	v_fma_f32 v1, v21, v105, -v3
	;; [unrolled: 1-line block ×3, first 2 shown]
	s_wait_loadcnt 0x0
	v_dual_mul_f32 v7, v24, v45 :: v_dual_mul_f32 v16, v33, v112
	v_dual_mul_f32 v17, v32, v112 :: v_dual_fmac_f32 v4, v18, v101
	v_fmac_f32_e32 v0, v20, v105
	v_fmac_f32_e32 v2, v22, v99
	s_delay_alu instid0(VALU_DEP_4)
	v_fma_f32 v7, v25, v44, -v7
	v_fmac_f32_e32 v14, v30, v109
	v_fma_f32 v15, v31, v109, -v15
	v_fmac_f32_e32 v16, v32, v111
	v_fma_f32 v17, v33, v111, -v17
	ds_store_2addr_b64 v62, v[8:9], v[4:5] offset0:48 offset1:150
	ds_store_2addr_b64 v57, v[0:1], v[2:3] offset0:124 offset1:226
	;; [unrolled: 1-line block ×4, first 2 shown]
	ds_store_b64 v135, v[16:17] offset:13056
	global_wb scope:SCOPE_SE
	s_wait_storecnt_dscnt 0x0
	s_wait_kmcnt 0x0
	s_barrier_signal -1
	s_barrier_wait -1
	global_inv scope:SCOPE_SE
	ds_load_2addr_b64 v[20:23], v135 offset1:102
	ds_load_b64 v[32:33], v135 offset:13056
	ds_load_2addr_b64 v[28:31], v56 offset0:76 offset1:178
	ds_load_2addr_b64 v[12:15], v59 offset0:148 offset1:250
	ds_load_2addr_b64 v[4:7], v60 offset0:152 offset1:254
	ds_load_2addr_b64 v[8:11], v58 offset0:72 offset1:174
	ds_load_2addr_b64 v[0:3], v61 offset0:100 offset1:202
	ds_load_2addr_b64 v[16:19], v62 offset0:48 offset1:150
	ds_load_2addr_b64 v[24:27], v57 offset0:124 offset1:226
	global_wb scope:SCOPE_SE
	s_wait_dscnt 0x0
	s_barrier_signal -1
	s_barrier_wait -1
	global_inv scope:SCOPE_SE
	v_add_f32_e32 v35, v21, v23
	v_add_f32_e32 v37, v33, v23
	v_dual_sub_f32 v23, v23, v33 :: v_dual_add_f32 v34, v20, v22
	v_dual_add_f32 v36, v32, v22 :: v_dual_sub_f32 v41, v29, v15
	v_sub_f32_e32 v22, v22, v32
	v_dual_add_f32 v38, v14, v28 :: v_dual_add_f32 v39, v15, v29
	s_delay_alu instid0(VALU_DEP_3) | instskip(SKIP_4) | instid1(VALU_DEP_4)
	v_dual_sub_f32 v40, v28, v14 :: v_dual_mul_f32 v75, 0xbe3c28d5, v41
	v_sub_f32_e32 v45, v31, v13
	v_add_f32_e32 v29, v35, v29
	v_dual_mul_f32 v67, 0xbf06c442, v23 :: v_dual_add_f32 v28, v34, v28
	v_mul_f32_e32 v71, 0xbf7ee86f, v41
	v_mul_f32_e32 v119, 0xbf65296c, v45
	;; [unrolled: 1-line block ×3, first 2 shown]
	v_add_f32_e32 v43, v13, v31
	v_dual_mul_f32 v34, 0xbeb8f4ab, v23 :: v_dual_mul_f32 v129, 0xbeb8f4ab, v45
	v_dual_mul_f32 v50, 0xbf2c7751, v23 :: v_dual_mul_f32 v51, 0xbf2c7751, v22
	v_mul_f32_e32 v53, 0xbf65296c, v22
	v_dual_mul_f32 v54, 0xbf7ee86f, v23 :: v_dual_mul_f32 v131, 0xbf7ee86f, v45
	v_dual_mul_f32 v64, 0xbf763a35, v22 :: v_dual_add_f32 v29, v29, v31
	v_dual_mul_f32 v65, 0xbf4c4adb, v23 :: v_dual_mul_f32 v66, 0xbf4c4adb, v22
	v_dual_mul_f32 v121, 0xbf4c4adb, v45 :: v_dual_add_f32 v28, v28, v30
	v_fmamk_f32 v31, v37, 0x3f6eb680, v35
	v_fma_f32 v35, 0x3f6eb680, v37, -v35
	v_dual_add_f32 v42, v12, v30 :: v_dual_mul_f32 v77, 0x3f06c442, v41
	v_dual_sub_f32 v44, v30, v12 :: v_dual_mul_f32 v79, 0x3f763a35, v41
	v_dual_sub_f32 v47, v5, v11 :: v_dual_sub_f32 v48, v4, v10
	v_mul_f32_e32 v55, 0xbf7ee86f, v22
	v_mul_f32_e32 v63, 0xbf763a35, v23
	v_dual_mul_f32 v70, 0xbf2c7751, v40 :: v_dual_add_f32 v31, v21, v31
	s_delay_alu instid0(VALU_DEP_4)
	v_dual_mul_f32 v72, 0xbf7ee86f, v40 :: v_dual_mul_f32 v133, 0xbf7ee86f, v47
	v_dual_mul_f32 v73, 0xbf4c4adb, v41 :: v_dual_mul_f32 v74, 0xbf4c4adb, v40
	v_dual_add_f32 v35, v21, v35 :: v_dual_mul_f32 v116, 0x3f763a35, v40
	v_mul_f32_e32 v125, 0x3f763a35, v45
	v_fmamk_f32 v150, v37, 0x3f3d2fb0, v51
	v_fma_f32 v51, 0x3f3d2fb0, v37, -v51
	v_mul_f32_e32 v76, 0xbe3c28d5, v40
	v_fmamk_f32 v152, v37, 0x3ee437d1, v53
	v_fma_f32 v53, 0x3ee437d1, v37, -v53
	v_mul_f32_e32 v52, 0xbf65296c, v23
	v_mul_f32_e32 v23, 0xbe3c28d5, v23
	v_fma_f32 v30, 0x3f6eb680, v36, -v34
	v_fma_f32 v149, 0x3f3d2fb0, v36, -v50
	v_add_f32_e32 v53, v21, v53
	v_fma_f32 v153, 0x3dbcf732, v36, -v54
	v_fmac_f32_e32 v54, 0x3dbcf732, v36
	v_fma_f32 v157, 0xbf1a4643, v36, -v65
	v_dual_fmamk_f32 v158, v37, 0xbf1a4643, v66 :: v_dual_fmac_f32 v65, 0xbf1a4643, v36
	v_dual_add_f32 v46, v10, v4 :: v_dual_mul_f32 v117, 0x3f65296c, v41
	v_dual_add_f32 v49, v11, v5 :: v_dual_mul_f32 v68, 0xbf06c442, v22
	v_dual_mul_f32 v22, 0xbe3c28d5, v22 :: v_dual_mul_f32 v137, 0xbe3c28d5, v47
	v_mul_f32_e32 v69, 0xbf2c7751, v41
	v_mul_f32_e32 v41, 0x3eb8f4ab, v41
	v_dual_mul_f32 v138, 0xbe3c28d5, v48 :: v_dual_add_f32 v65, v20, v65
	v_fmac_f32_e32 v34, 0x3f6eb680, v36
	v_fma_f32 v155, 0xbe8c1d8e, v36, -v63
	v_fma_f32 v163, 0x3dbcf732, v38, -v71
	v_dual_fmamk_f32 v164, v39, 0x3dbcf732, v72 :: v_dual_fmac_f32 v71, 0x3dbcf732, v38
	v_fma_f32 v167, 0xbf7ba420, v38, -v75
	v_fmac_f32_e32 v75, 0xbf7ba420, v38
	v_fma_f32 v171, 0xbe8c1d8e, v38, -v79
	v_dual_fmamk_f32 v172, v39, 0xbe8c1d8e, v116 :: v_dual_fmac_f32 v79, 0xbe8c1d8e, v38
	v_fma_f32 v187, 0x3dbcf732, v42, -v131
	v_fmac_f32_e32 v131, 0x3dbcf732, v42
	v_fmamk_f32 v154, v37, 0x3dbcf732, v55
	v_fma_f32 v55, 0x3dbcf732, v37, -v55
	v_dual_add_f32 v30, v20, v30 :: v_dual_add_f32 v5, v29, v5
	v_dual_add_f32 v149, v20, v149 :: v_dual_fmac_f32 v50, 0x3f3d2fb0, v36
	v_dual_add_f32 v51, v21, v51 :: v_dual_fmamk_f32 v168, v39, 0xbf7ba420, v76
	v_dual_add_f32 v54, v20, v54 :: v_dual_add_f32 v65, v79, v65
	v_dual_mul_f32 v118, 0x3f65296c, v40 :: v_dual_add_f32 v153, v20, v153
	v_dual_mul_f32 v120, 0xbf65296c, v44 :: v_dual_mul_f32 v143, 0xbf65296c, v47
	v_dual_mul_f32 v122, 0xbf4c4adb, v44 :: v_dual_add_f32 v55, v21, v55
	v_dual_mul_f32 v123, 0x3e3c28d5, v45 :: v_dual_mul_f32 v124, 0x3e3c28d5, v44
	v_dual_mul_f32 v126, 0x3f763a35, v44 :: v_dual_mul_f32 v139, 0x3f763a35, v47
	;; [unrolled: 1-line block ×3, first 2 shown]
	v_dual_mul_f32 v130, 0xbeb8f4ab, v44 :: v_dual_add_f32 v155, v20, v155
	v_mul_f32_e32 v45, 0xbf06c442, v45
	v_dual_mul_f32 v134, 0xbf7ee86f, v48 :: v_dual_add_f32 v157, v20, v157
	v_fma_f32 v151, 0x3ee437d1, v36, -v52
	v_mul_f32_e32 v78, 0x3f06c442, v40
	v_dual_mul_f32 v40, 0x3eb8f4ab, v40 :: v_dual_mul_f32 v141, 0x3eb8f4ab, v47
	v_fmac_f32_e32 v52, 0x3ee437d1, v36
	v_dual_fmamk_f32 v156, v37, 0xbe8c1d8e, v64 :: v_dual_fmac_f32 v63, 0xbe8c1d8e, v36
	v_mul_f32_e32 v132, 0xbf7ee86f, v44
	v_dual_mul_f32 v44, 0xbf06c442, v44 :: v_dual_mul_f32 v145, 0xbf06c442, v47
	v_fma_f32 v64, 0xbe8c1d8e, v37, -v64
	v_fma_f32 v66, 0xbf1a4643, v37, -v66
	;; [unrolled: 1-line block ×3, first 2 shown]
	v_dual_fmamk_f32 v160, v37, 0xbf59a7d5, v68 :: v_dual_fmac_f32 v67, 0xbf59a7d5, v36
	v_fma_f32 v68, 0xbf59a7d5, v37, -v68
	v_fma_f32 v161, 0xbf7ba420, v36, -v23
	v_mul_f32_e32 v144, 0xbf65296c, v48
	v_dual_fmamk_f32 v162, v37, 0xbf7ba420, v22 :: v_dual_fmac_f32 v23, 0xbf7ba420, v36
	v_fma_f32 v22, 0xbf7ba420, v37, -v22
	v_fma_f32 v36, 0x3f3d2fb0, v38, -v69
	v_fmamk_f32 v37, v39, 0x3f3d2fb0, v70
	v_fmac_f32_e32 v69, 0x3f3d2fb0, v38
	v_fma_f32 v70, 0x3f3d2fb0, v39, -v70
	v_fma_f32 v72, 0x3dbcf732, v39, -v72
	v_fmamk_f32 v166, v39, 0xbf1a4643, v74
	v_fma_f32 v74, 0xbf1a4643, v39, -v74
	v_fma_f32 v76, 0xbf7ba420, v39, -v76
	;; [unrolled: 1-line block ×4, first 2 shown]
	v_fmac_f32_e32 v41, 0x3f6eb680, v38
	v_add_f32_e32 v34, v20, v34
	v_dual_add_f32 v150, v21, v150 :: v_dual_add_f32 v55, v76, v55
	v_add_f32_e32 v50, v20, v50
	v_dual_add_f32 v54, v75, v54 :: v_dual_add_f32 v5, v5, v7
	v_dual_mul_f32 v140, 0x3f763a35, v48 :: v_dual_add_f32 v159, v20, v159
	v_dual_mul_f32 v142, 0x3eb8f4ab, v48 :: v_dual_add_f32 v67, v20, v67
	v_fma_f32 v165, 0xbf1a4643, v38, -v73
	v_fmac_f32_e32 v73, 0xbf1a4643, v38
	v_fmac_f32_e32 v77, 0xbf59a7d5, v38
	v_fma_f32 v116, 0xbe8c1d8e, v39, -v116
	v_fma_f32 v173, 0x3ee437d1, v38, -v117
	v_dual_fmamk_f32 v174, v39, 0x3ee437d1, v118 :: v_dual_fmac_f32 v117, 0x3ee437d1, v38
	v_fma_f32 v118, 0x3ee437d1, v39, -v118
	v_fmamk_f32 v176, v39, 0x3f6eb680, v40
	v_fma_f32 v38, 0x3f6eb680, v39, -v40
	v_fma_f32 v177, 0xbf1a4643, v42, -v121
	v_dual_fmamk_f32 v178, v43, 0xbf1a4643, v122 :: v_dual_fmac_f32 v121, 0xbf1a4643, v42
	v_fma_f32 v179, 0xbf7ba420, v42, -v123
	v_dual_fmamk_f32 v180, v43, 0xbf7ba420, v124 :: v_dual_fmac_f32 v123, 0xbf7ba420, v42
	v_fma_f32 v124, 0xbf7ba420, v43, -v124
	v_fma_f32 v181, 0xbe8c1d8e, v42, -v125
	v_dual_fmamk_f32 v182, v43, 0xbe8c1d8e, v126 :: v_dual_fmac_f32 v125, 0xbe8c1d8e, v42
	v_fma_f32 v183, 0x3f3d2fb0, v42, -v127
	v_dual_fmamk_f32 v184, v43, 0x3f3d2fb0, v128 :: v_dual_fmac_f32 v127, 0x3f3d2fb0, v42
	v_fma_f32 v185, 0x3f6eb680, v42, -v129
	v_fmac_f32_e32 v129, 0x3f6eb680, v42
	v_fma_f32 v189, 0xbf59a7d5, v42, -v45
	v_dual_fmamk_f32 v190, v43, 0xbf59a7d5, v44 :: v_dual_fmac_f32 v45, 0xbf59a7d5, v42
	v_dual_add_f32 v151, v20, v151 :: v_dual_fmamk_f32 v170, v39, 0xbf59a7d5, v78
	v_fma_f32 v78, 0xbf59a7d5, v39, -v78
	v_fma_f32 v39, 0x3ee437d1, v42, -v119
	v_fmac_f32_e32 v119, 0x3ee437d1, v42
	v_fma_f32 v42, 0xbf59a7d5, v43, -v44
	v_dual_fmamk_f32 v44, v49, 0x3dbcf732, v134 :: v_dual_add_f32 v63, v20, v63
	v_add_f32_e32 v52, v20, v52
	v_dual_add_f32 v161, v20, v161 :: v_dual_fmamk_f32 v198, v49, 0x3ee437d1, v144
	v_dual_add_f32 v20, v20, v23 :: v_dual_add_f32 v5, v5, v1
	v_dual_add_f32 v4, v28, v4 :: v_dual_add_f32 v23, v37, v31
	v_add_f32_e32 v29, v70, v35
	v_add_f32_e32 v31, v164, v150
	;; [unrolled: 1-line block ×3, first 2 shown]
	v_dual_add_f32 v160, v21, v160 :: v_dual_add_f32 v35, v72, v51
	v_add_f32_e32 v51, v74, v53
	s_delay_alu instid0(VALU_DEP_4)
	v_dual_add_f32 v31, v178, v31 :: v_dual_add_f32 v28, v69, v34
	v_dual_add_f32 v69, v169, v155 :: v_dual_add_f32 v34, v71, v50
	v_dual_add_f32 v71, v171, v157 :: v_dual_add_f32 v152, v21, v152
	v_dual_add_f32 v53, v168, v154 :: v_dual_mul_f32 v146, 0xbf06c442, v48
	v_fmamk_f32 v40, v43, 0x3ee437d1, v120
	v_fma_f32 v120, 0x3ee437d1, v43, -v120
	v_fma_f32 v122, 0xbf1a4643, v43, -v122
	v_dual_fmamk_f32 v196, v49, 0x3f6eb680, v142 :: v_dual_add_f32 v37, v166, v152
	v_fma_f32 v197, 0x3ee437d1, v46, -v143
	v_dual_fmac_f32 v143, 0x3ee437d1, v46 :: v_dual_add_f32 v156, v21, v156
	v_dual_add_f32 v75, v175, v161 :: v_dual_add_f32 v64, v21, v64
	v_dual_add_f32 v158, v21, v158 :: v_dual_add_f32 v23, v40, v23
	;; [unrolled: 1-line block ×6, first 2 shown]
	v_add_f32_e32 v5, v5, v3
	v_fma_f32 v126, 0xbe8c1d8e, v43, -v126
	v_fma_f32 v128, 0x3f3d2fb0, v43, -v128
	v_dual_add_f32 v22, v36, v30 :: v_dual_add_f32 v67, v117, v67
	v_add_f32_e32 v63, v77, v63
	v_add_f32_e32 v50, v73, v52
	;; [unrolled: 1-line block ×4, first 2 shown]
	v_dual_add_f32 v64, v78, v64 :: v_dual_add_f32 v65, v129, v65
	v_add_f32_e32 v52, v167, v153
	v_dual_add_f32 v4, v4, v6 :: v_dual_add_f32 v5, v5, v17
	v_fma_f32 v134, 0x3dbcf732, v49, -v134
	v_fma_f32 v191, 0xbf7ba420, v46, -v137
	v_dual_fmamk_f32 v192, v49, 0xbf7ba420, v138 :: v_dual_fmac_f32 v137, 0xbf7ba420, v46
	v_fma_f32 v142, 0x3f6eb680, v49, -v142
	v_add_f32_e32 v30, v163, v149
	v_add_f32_e32 v70, v170, v156
	v_dual_add_f32 v20, v41, v20 :: v_dual_add_f32 v29, v134, v29
	v_dual_add_f32 v22, v39, v22 :: v_dual_add_f32 v31, v192, v31
	;; [unrolled: 1-line block ×3, first 2 shown]
	v_add_f32_e32 v39, v124, v51
	v_add_f32_e32 v41, v182, v53
	v_add_f32_e32 v51, v126, v55
	v_add_f32_e32 v55, v128, v64
	v_add_f32_e32 v40, v181, v52
	v_add_f32_e32 v52, v183, v69
	v_add_f32_e32 v69, v187, v73
	v_dual_add_f32 v38, v123, v50 :: v_dual_add_f32 v41, v196, v41
	v_add_f32_e32 v50, v125, v54
	v_add_f32_e32 v54, v127, v63
	v_add_f32_e32 v63, v185, v71
	v_dual_add_f32 v36, v165, v151 :: v_dual_add_f32 v53, v184, v70
	v_dual_add_f32 v5, v5, v25 :: v_dual_fmamk_f32 v186, v43, 0x3f6eb680, v130
	v_fma_f32 v130, 0x3f6eb680, v43, -v130
	s_delay_alu instid0(VALU_DEP_3) | instskip(SKIP_1) | instid1(VALU_DEP_4)
	v_add_f32_e32 v36, v179, v36
	v_dual_add_f32 v66, v116, v66 :: v_dual_add_f32 v71, v189, v75
	v_dual_add_f32 v5, v5, v27 :: v_dual_fmamk_f32 v188, v43, 0x3dbcf732, v132
	v_fma_f32 v132, 0x3dbcf732, v43, -v132
	v_fma_f32 v43, 0x3dbcf732, v46, -v133
	v_fmac_f32_e32 v133, 0x3dbcf732, v46
	s_delay_alu instid0(VALU_DEP_4) | instskip(SKIP_2) | instid1(VALU_DEP_3)
	v_dual_add_f32 v5, v5, v9 :: v_dual_add_f32 v66, v130, v66
	v_dual_add_f32 v72, v172, v158 :: v_dual_add_f32 v67, v131, v67
	;; [unrolled: 1-line block ×4, first 2 shown]
	v_fma_f32 v195, 0x3f6eb680, v46, -v141
	v_fmac_f32_e32 v141, 0x3f6eb680, v46
	v_fma_f32 v144, 0x3ee437d1, v49, -v144
	s_delay_alu instid0(VALU_DEP_4) | instskip(SKIP_1) | instid1(VALU_DEP_2)
	v_dual_add_f32 v5, v5, v13 :: v_dual_add_f32 v64, v186, v72
	v_dual_add_f32 v72, v190, v76 :: v_dual_mul_f32 v147, 0x3f4c4adb, v47
	v_dual_mul_f32 v148, 0x3f4c4adb, v48 :: v_dual_add_f32 v5, v5, v15
	v_dual_add_f32 v4, v4, v2 :: v_dual_mul_f32 v47, 0x3f2c7751, v47
	v_mul_f32_e32 v48, 0x3f2c7751, v48
	v_dual_add_f32 v68, v118, v68 :: v_dual_add_f32 v23, v44, v23
	s_delay_alu instid0(VALU_DEP_3) | instskip(NEXT) | instid1(VALU_DEP_3)
	v_dual_add_f32 v5, v5, v33 :: v_dual_add_f32 v4, v4, v16
	v_fmamk_f32 v33, v49, 0x3f3d2fb0, v48
	v_fma_f32 v138, 0xbf7ba420, v49, -v138
	v_add_f32_e32 v28, v119, v28
	v_fma_f32 v193, 0xbe8c1d8e, v46, -v139
	v_add_f32_e32 v4, v4, v18
	v_dual_fmamk_f32 v194, v49, 0xbe8c1d8e, v140 :: v_dual_fmac_f32 v139, 0xbe8c1d8e, v46
	v_fma_f32 v199, 0xbf59a7d5, v46, -v145
	v_dual_fmamk_f32 v200, v49, 0xbf59a7d5, v146 :: v_dual_fmac_f32 v145, 0xbf59a7d5, v46
	s_delay_alu instid0(VALU_DEP_4) | instskip(SKIP_3) | instid1(VALU_DEP_4)
	v_add_f32_e32 v4, v4, v24
	v_fma_f32 v201, 0xbf1a4643, v46, -v147
	v_dual_fmamk_f32 v202, v49, 0xbf1a4643, v148 :: v_dual_fmac_f32 v147, 0xbf1a4643, v46
	v_fma_f32 v203, 0x3f3d2fb0, v46, -v47
	v_dual_add_f32 v4, v4, v26 :: v_dual_add_f32 v35, v138, v35
	v_dual_add_f32 v28, v133, v28 :: v_dual_fmac_f32 v47, 0x3f3d2fb0, v46
	v_sub_f32_e32 v46, v6, v8
	s_delay_alu instid0(VALU_DEP_3)
	v_add_f32_e32 v4, v4, v8
	v_fma_f32 v140, 0xbe8c1d8e, v49, -v140
	v_add_f32_e32 v34, v121, v34
	v_add_f32_e32 v20, v45, v20
	v_add_f32_e32 v22, v43, v22
	v_add_f32_e32 v4, v4, v10
	v_dual_add_f32 v36, v193, v36 :: v_dual_add_f32 v43, v142, v51
	v_add_f32_e32 v51, v144, v55
	v_fma_f32 v48, 0x3f3d2fb0, v49, -v48
	s_delay_alu instid0(VALU_DEP_4) | instskip(SKIP_3) | instid1(VALU_DEP_4)
	v_add_f32_e32 v4, v4, v12
	v_fma_f32 v146, 0xbf59a7d5, v49, -v146
	v_fma_f32 v148, 0xbf1a4643, v49, -v148
	v_dual_add_f32 v30, v177, v30 :: v_dual_add_f32 v37, v194, v37
	v_add_f32_e32 v4, v4, v14
	v_dual_add_f32 v39, v140, v39 :: v_dual_add_f32 v34, v137, v34
	v_add_f32_e32 v21, v48, v21
	s_delay_alu instid0(VALU_DEP_3) | instskip(SKIP_4) | instid1(VALU_DEP_4)
	v_dual_add_f32 v45, v198, v53 :: v_dual_add_f32 v4, v4, v32
	v_sub_f32_e32 v32, v7, v9
	v_dual_add_f32 v6, v8, v6 :: v_dual_add_f32 v7, v9, v7
	v_mul_f32_e32 v9, 0xbf763a35, v46
	v_add_f32_e32 v11, v200, v64
	v_dual_mul_f32 v8, 0xbf763a35, v32 :: v_dual_add_f32 v53, v202, v70
	v_add_f32_e32 v20, v47, v20
	s_delay_alu instid0(VALU_DEP_4) | instskip(SKIP_1) | instid1(VALU_DEP_4)
	v_fmamk_f32 v47, v7, 0xbe8c1d8e, v9
	v_mul_f32_e32 v48, 0x3f06c442, v32
	v_fma_f32 v49, 0xbe8c1d8e, v6, -v8
	v_fmac_f32_e32 v8, 0xbe8c1d8e, v6
	v_dual_add_f32 v68, v132, v68 :: v_dual_add_f32 v13, v201, v69
	v_add_f32_e32 v30, v191, v30
	v_add_f32_e32 v40, v195, v40
	;; [unrolled: 1-line block ×3, first 2 shown]
	v_fma_f32 v9, 0xbe8c1d8e, v7, -v9
	v_add_f32_e32 v23, v47, v23
	v_fma_f32 v47, 0xbf59a7d5, v6, -v48
	v_dual_mul_f32 v49, 0x3f06c442, v46 :: v_dual_add_f32 v8, v8, v28
	v_mul_f32_e32 v28, 0x3f2c7751, v32
	v_dual_add_f32 v10, v199, v63 :: v_dual_mul_f32 v55, 0x3f2c7751, v46
	v_add_f32_e32 v15, v148, v68
	v_add_f32_e32 v44, v197, v52
	;; [unrolled: 1-line block ×4, first 2 shown]
	v_fmamk_f32 v30, v7, 0xbf59a7d5, v49
	v_fmac_f32_e32 v48, 0xbf59a7d5, v6
	v_fma_f32 v47, 0xbf59a7d5, v7, -v49
	v_fma_f32 v49, 0x3f3d2fb0, v6, -v28
	v_dual_add_f32 v38, v139, v38 :: v_dual_add_f32 v33, v33, v72
	v_add_f32_e32 v42, v141, v50
	v_add_f32_e32 v50, v143, v54
	;; [unrolled: 1-line block ×3, first 2 shown]
	v_dual_add_f32 v30, v30, v31 :: v_dual_add_f32 v31, v48, v34
	v_dual_add_f32 v34, v47, v35 :: v_dual_add_f32 v35, v49, v36
	v_fmac_f32_e32 v28, 0x3f3d2fb0, v6
	v_fma_f32 v48, 0x3f3d2fb0, v7, -v55
	v_mul_f32_e32 v49, 0xbf65296c, v46
	v_fmamk_f32 v36, v7, 0x3f3d2fb0, v55
	v_add_f32_e32 v54, v203, v71
	v_add_f32_e32 v28, v28, v38
	s_delay_alu instid0(VALU_DEP_4) | instskip(SKIP_2) | instid1(VALU_DEP_3)
	v_dual_add_f32 v38, v48, v39 :: v_dual_fmamk_f32 v39, v7, 0x3ee437d1, v49
	v_mul_f32_e32 v48, 0xbe3c28d5, v32
	v_add_f32_e32 v36, v36, v37
	v_add_f32_e32 v39, v39, v41
	s_delay_alu instid0(VALU_DEP_3) | instskip(NEXT) | instid1(VALU_DEP_1)
	v_fma_f32 v41, 0xbf7ba420, v6, -v48
	v_add_f32_e32 v41, v41, v44
	v_mul_f32_e32 v47, 0xbf65296c, v32
	s_delay_alu instid0(VALU_DEP_1) | instskip(NEXT) | instid1(VALU_DEP_1)
	v_fma_f32 v37, 0x3ee437d1, v6, -v47
	v_dual_add_f32 v12, v146, v66 :: v_dual_add_f32 v37, v37, v40
	v_fma_f32 v40, 0x3ee437d1, v7, -v49
	s_delay_alu instid0(VALU_DEP_1) | instskip(SKIP_2) | instid1(VALU_DEP_3)
	v_dual_mul_f32 v49, 0xbe3c28d5, v46 :: v_dual_add_f32 v40, v40, v43
	v_dual_mul_f32 v43, 0x3f7ee86f, v32 :: v_dual_add_f32 v14, v147, v67
	v_fmac_f32_e32 v47, 0x3ee437d1, v6
	v_fmamk_f32 v44, v7, 0xbf7ba420, v49
	v_fmac_f32_e32 v48, 0xbf7ba420, v6
	s_delay_alu instid0(VALU_DEP_3)
	v_add_f32_e32 v42, v47, v42
	v_fma_f32 v47, 0xbf7ba420, v7, -v49
	v_fma_f32 v49, 0x3dbcf732, v6, -v43
	v_add_f32_e32 v44, v44, v45
	v_add_f32_e32 v45, v48, v50
	v_mul_f32_e32 v55, 0x3f7ee86f, v46
	v_fmac_f32_e32 v43, 0x3dbcf732, v6
	v_dual_add_f32 v10, v49, v10 :: v_dual_mul_f32 v49, 0xbeb8f4ab, v32
	v_mul_f32_e32 v50, 0xbeb8f4ab, v46
	s_delay_alu instid0(VALU_DEP_4) | instskip(SKIP_3) | instid1(VALU_DEP_4)
	v_fmamk_f32 v48, v7, 0x3dbcf732, v55
	v_add_f32_e32 v47, v47, v51
	v_fma_f32 v51, 0x3dbcf732, v7, -v55
	v_add_f32_e32 v43, v43, v52
	v_dual_mul_f32 v32, 0xbf4c4adb, v32 :: v_dual_add_f32 v11, v48, v11
	v_fma_f32 v48, 0x3f6eb680, v6, -v49
	v_dual_fmac_f32 v49, 0x3f6eb680, v6 :: v_dual_fmamk_f32 v52, v7, 0x3f6eb680, v50
	v_fma_f32 v50, 0x3f6eb680, v7, -v50
	s_delay_alu instid0(VALU_DEP_3) | instskip(NEXT) | instid1(VALU_DEP_3)
	v_dual_mul_f32 v46, 0xbf4c4adb, v46 :: v_dual_add_f32 v13, v48, v13
	v_add_f32_e32 v14, v49, v14
	s_delay_alu instid0(VALU_DEP_4)
	v_dual_sub_f32 v49, v1, v27 :: v_dual_add_f32 v48, v52, v53
	v_add_f32_e32 v52, v26, v0
	v_dual_sub_f32 v0, v0, v26 :: v_dual_add_f32 v1, v27, v1
	v_add_f32_e32 v12, v51, v12
	v_fma_f32 v51, 0xbf1a4643, v6, -v32
	v_mul_f32_e32 v53, 0xbf4c4adb, v49
	v_dual_add_f32 v15, v50, v15 :: v_dual_fmac_f32 v32, 0xbf1a4643, v6
	v_fma_f32 v6, 0xbf1a4643, v7, -v46
	s_delay_alu instid0(VALU_DEP_4)
	v_add_f32_e32 v50, v51, v54
	v_fmamk_f32 v51, v7, 0xbf1a4643, v46
	v_fma_f32 v7, 0xbf1a4643, v52, -v53
	v_mul_f32_e32 v26, 0xbf4c4adb, v0
	v_add_f32_e32 v20, v32, v20
	v_add_f32_e32 v6, v6, v21
	;; [unrolled: 1-line block ×4, first 2 shown]
	v_fmamk_f32 v21, v1, 0xbf1a4643, v26
	v_mul_f32_e32 v22, 0x3f763a35, v49
	v_fma_f32 v26, 0xbf1a4643, v1, -v26
	v_mul_f32_e32 v32, 0x3f763a35, v0
	v_mul_f32_e32 v33, 0xbeb8f4ab, v49
	v_add_f32_e32 v21, v21, v23
	v_fma_f32 v23, 0xbe8c1d8e, v52, -v22
	s_delay_alu instid0(VALU_DEP_4) | instskip(SKIP_2) | instid1(VALU_DEP_4)
	v_dual_add_f32 v9, v26, v9 :: v_dual_fmamk_f32 v26, v1, 0xbe8c1d8e, v32
	v_fmac_f32_e32 v22, 0xbe8c1d8e, v52
	v_fmac_f32_e32 v53, 0xbf1a4643, v52
	v_add_f32_e32 v23, v23, v29
	v_fma_f32 v29, 0xbe8c1d8e, v1, -v32
	v_add_f32_e32 v26, v26, v30
	v_fma_f32 v30, 0x3f6eb680, v52, -v33
	v_dual_add_f32 v22, v22, v31 :: v_dual_mul_f32 v31, 0xbf06c442, v49
	s_delay_alu instid0(VALU_DEP_4) | instskip(NEXT) | instid1(VALU_DEP_3)
	v_dual_mul_f32 v32, 0xbeb8f4ab, v0 :: v_dual_add_f32 v29, v29, v34
	v_add_f32_e32 v30, v30, v35
	v_mul_f32_e32 v46, 0xbf06c442, v0
	s_delay_alu instid0(VALU_DEP_4) | instskip(SKIP_3) | instid1(VALU_DEP_3)
	v_fma_f32 v35, 0xbf59a7d5, v52, -v31
	v_fmac_f32_e32 v31, 0xbf59a7d5, v52
	v_fmamk_f32 v34, v1, 0x3f6eb680, v32
	v_fma_f32 v32, 0x3f6eb680, v1, -v32
	v_add_f32_e32 v31, v31, v42
	v_fmac_f32_e32 v33, 0x3f6eb680, v52
	s_delay_alu instid0(VALU_DEP_4) | instskip(NEXT) | instid1(VALU_DEP_4)
	v_add_f32_e32 v34, v34, v36
	v_add_f32_e32 v32, v32, v38
	v_mul_f32_e32 v38, 0x3f7ee86f, v0
	v_mul_f32_e32 v42, 0xbf2c7751, v49
	v_dual_add_f32 v28, v33, v28 :: v_dual_add_f32 v33, v35, v37
	v_fmamk_f32 v35, v1, 0xbf59a7d5, v46
	v_mul_f32_e32 v36, 0x3f7ee86f, v49
	v_fma_f32 v37, 0xbf59a7d5, v1, -v46
	s_delay_alu instid0(VALU_DEP_3) | instskip(NEXT) | instid1(VALU_DEP_3)
	v_add_f32_e32 v35, v35, v39
	v_fma_f32 v39, 0x3dbcf732, v52, -v36
	s_delay_alu instid0(VALU_DEP_3) | instskip(SKIP_2) | instid1(VALU_DEP_4)
	v_add_f32_e32 v37, v37, v40
	v_fmamk_f32 v40, v1, 0x3dbcf732, v38
	v_fma_f32 v38, 0x3dbcf732, v1, -v38
	v_dual_fmac_f32 v36, 0x3dbcf732, v52 :: v_dual_add_f32 v39, v39, v41
	v_fma_f32 v41, 0x3f3d2fb0, v52, -v42
	s_delay_alu instid0(VALU_DEP_4) | instskip(SKIP_4) | instid1(VALU_DEP_4)
	v_add_f32_e32 v40, v40, v44
	v_mul_f32_e32 v44, 0xbf2c7751, v0
	v_add_f32_e32 v38, v38, v47
	v_fmac_f32_e32 v42, 0x3f3d2fb0, v52
	v_add_f32_e32 v10, v41, v10
	v_fmamk_f32 v41, v1, 0x3f3d2fb0, v44
	v_fma_f32 v44, 0x3f3d2fb0, v1, -v44
	s_delay_alu instid0(VALU_DEP_2) | instskip(SKIP_2) | instid1(VALU_DEP_4)
	v_add_f32_e32 v11, v41, v11
	v_add_f32_e32 v41, v42, v43
	v_mul_f32_e32 v47, 0xbe3c28d5, v0
	v_add_f32_e32 v12, v44, v12
	v_dual_mul_f32 v0, 0x3f65296c, v0 :: v_dual_mul_f32 v43, 0x3f65296c, v49
	s_delay_alu instid0(VALU_DEP_3) | instskip(SKIP_1) | instid1(VALU_DEP_3)
	v_fma_f32 v44, 0xbf7ba420, v1, -v47
	v_fmamk_f32 v42, v1, 0xbf7ba420, v47
	v_fmamk_f32 v47, v1, 0x3ee437d1, v0
	v_fma_f32 v0, 0x3ee437d1, v1, -v0
	v_add_f32_e32 v1, v25, v3
	v_dual_add_f32 v15, v44, v15 :: v_dual_sub_f32 v44, v3, v25
	v_add_f32_e32 v36, v36, v45
	s_delay_alu instid0(VALU_DEP_4) | instskip(SKIP_2) | instid1(VALU_DEP_3)
	v_dual_mul_f32 v45, 0xbe3c28d5, v49 :: v_dual_add_f32 v0, v0, v6
	v_add_f32_e32 v49, v18, v16
	v_add_f32_e32 v27, v47, v27
	v_fma_f32 v46, 0xbf7ba420, v52, -v45
	v_fmac_f32_e32 v45, 0xbf7ba420, v52
	s_delay_alu instid0(VALU_DEP_2) | instskip(SKIP_1) | instid1(VALU_DEP_3)
	v_add_f32_e32 v13, v46, v13
	v_fma_f32 v46, 0x3ee437d1, v52, -v43
	v_dual_add_f32 v14, v45, v14 :: v_dual_fmac_f32 v43, 0x3ee437d1, v52
	s_delay_alu instid0(VALU_DEP_2) | instskip(SKIP_3) | instid1(VALU_DEP_2)
	v_add_f32_e32 v45, v46, v50
	v_add_f32_e32 v46, v24, v2
	v_sub_f32_e32 v2, v2, v24
	v_add_f32_e32 v8, v53, v8
	v_dual_add_f32 v20, v43, v20 :: v_dual_mul_f32 v3, 0xbf06c442, v2
	s_delay_alu instid0(VALU_DEP_1) | instskip(SKIP_1) | instid1(VALU_DEP_2)
	v_fmamk_f32 v43, v1, 0xbf59a7d5, v3
	v_fma_f32 v3, 0xbf59a7d5, v1, -v3
	v_dual_add_f32 v21, v43, v21 :: v_dual_mul_f32 v24, 0xbf06c442, v44
	s_delay_alu instid0(VALU_DEP_2) | instskip(SKIP_1) | instid1(VALU_DEP_3)
	v_dual_add_f32 v3, v3, v9 :: v_dual_mul_f32 v6, 0x3f65296c, v44
	v_mul_f32_e32 v43, 0x3f65296c, v2
	v_fma_f32 v25, 0xbf59a7d5, v46, -v24
	s_delay_alu instid0(VALU_DEP_1) | instskip(NEXT) | instid1(VALU_DEP_4)
	v_dual_fmac_f32 v24, 0xbf59a7d5, v46 :: v_dual_add_f32 v7, v25, v7
	v_fma_f32 v25, 0x3ee437d1, v46, -v6
	s_delay_alu instid0(VALU_DEP_1) | instskip(SKIP_2) | instid1(VALU_DEP_2)
	v_dual_add_f32 v8, v24, v8 :: v_dual_add_f32 v9, v25, v23
	v_mul_f32_e32 v23, 0xbf7ee86f, v44
	v_fma_f32 v25, 0x3ee437d1, v1, -v43
	v_fma_f32 v47, 0x3dbcf732, v46, -v23
	s_delay_alu instid0(VALU_DEP_2) | instskip(SKIP_3) | instid1(VALU_DEP_3)
	v_add_f32_e32 v25, v25, v29
	v_fmamk_f32 v24, v1, 0x3ee437d1, v43
	v_mul_f32_e32 v43, 0xbf7ee86f, v2
	v_fmac_f32_e32 v23, 0x3dbcf732, v46
	v_dual_mul_f32 v29, 0x3f4c4adb, v44 :: v_dual_add_f32 v24, v24, v26
	v_fmac_f32_e32 v6, 0x3ee437d1, v46
	v_add_f32_e32 v26, v47, v30
	v_fma_f32 v30, 0x3dbcf732, v1, -v43
	s_delay_alu instid0(VALU_DEP_3) | instskip(NEXT) | instid1(VALU_DEP_2)
	v_dual_add_f32 v23, v23, v28 :: v_dual_add_f32 v22, v6, v22
	v_add_f32_e32 v28, v30, v32
	v_fmamk_f32 v6, v1, 0x3dbcf732, v43
	v_fma_f32 v43, 0xbf1a4643, v46, -v29
	v_fmac_f32_e32 v29, 0xbf1a4643, v46
	s_delay_alu instid0(VALU_DEP_3) | instskip(SKIP_1) | instid1(VALU_DEP_4)
	v_add_f32_e32 v34, v6, v34
	v_mul_f32_e32 v6, 0x3f4c4adb, v2
	v_dual_mul_f32 v30, 0xbeb8f4ab, v44 :: v_dual_add_f32 v33, v43, v33
	s_delay_alu instid0(VALU_DEP_4) | instskip(NEXT) | instid1(VALU_DEP_3)
	v_add_f32_e32 v29, v29, v31
	v_fmamk_f32 v32, v1, 0xbf1a4643, v6
	v_fma_f32 v6, 0xbf1a4643, v1, -v6
	s_delay_alu instid0(VALU_DEP_4) | instskip(NEXT) | instid1(VALU_DEP_3)
	v_fma_f32 v43, 0x3f6eb680, v46, -v30
	v_dual_add_f32 v32, v32, v35 :: v_dual_mul_f32 v35, 0xbeb8f4ab, v2
	s_delay_alu instid0(VALU_DEP_3) | instskip(NEXT) | instid1(VALU_DEP_3)
	v_add_f32_e32 v31, v6, v37
	v_add_f32_e32 v37, v43, v39
	v_mul_f32_e32 v43, 0xbe3c28d5, v2
	s_delay_alu instid0(VALU_DEP_4) | instskip(SKIP_1) | instid1(VALU_DEP_2)
	v_fmamk_f32 v39, v1, 0x3f6eb680, v35
	v_fma_f32 v35, 0x3f6eb680, v1, -v35
	v_add_f32_e32 v39, v39, v40
	s_delay_alu instid0(VALU_DEP_2) | instskip(SKIP_3) | instid1(VALU_DEP_3)
	v_dual_add_f32 v42, v42, v48 :: v_dual_add_f32 v35, v35, v38
	v_fmac_f32_e32 v30, 0x3f6eb680, v46
	v_fma_f32 v40, 0xbf7ba420, v1, -v43
	v_mul_f32_e32 v6, 0xbe3c28d5, v44
	v_add_f32_e32 v30, v30, v36
	s_delay_alu instid0(VALU_DEP_3) | instskip(SKIP_1) | instid1(VALU_DEP_4)
	v_add_f32_e32 v40, v40, v12
	v_fmamk_f32 v36, v1, 0xbf7ba420, v43
	v_fma_f32 v47, 0xbf7ba420, v46, -v6
	s_delay_alu instid0(VALU_DEP_2) | instskip(NEXT) | instid1(VALU_DEP_2)
	v_dual_add_f32 v36, v36, v11 :: v_dual_mul_f32 v11, 0x3f2c7751, v2
	v_add_f32_e32 v38, v47, v10
	v_mul_f32_e32 v10, 0x3f2c7751, v44
	s_delay_alu instid0(VALU_DEP_3) | instskip(SKIP_1) | instid1(VALU_DEP_1)
	v_fmamk_f32 v12, v1, 0x3f3d2fb0, v11
	v_fma_f32 v11, 0x3f3d2fb0, v1, -v11
	v_dual_add_f32 v47, v11, v15 :: v_dual_fmac_f32 v6, 0xbf7ba420, v46
	s_delay_alu instid0(VALU_DEP_4) | instskip(NEXT) | instid1(VALU_DEP_2)
	v_fma_f32 v43, 0x3f3d2fb0, v46, -v10
	v_dual_fmac_f32 v10, 0x3f3d2fb0, v46 :: v_dual_add_f32 v41, v6, v41
	s_delay_alu instid0(VALU_DEP_2) | instskip(NEXT) | instid1(VALU_DEP_2)
	v_dual_mul_f32 v6, 0xbf763a35, v44 :: v_dual_add_f32 v43, v43, v13
	v_add_f32_e32 v44, v10, v14
	s_delay_alu instid0(VALU_DEP_2) | instskip(NEXT) | instid1(VALU_DEP_1)
	v_fma_f32 v13, 0xbe8c1d8e, v46, -v6
	v_dual_fmac_f32 v6, 0xbe8c1d8e, v46 :: v_dual_add_f32 v45, v13, v45
	s_delay_alu instid0(VALU_DEP_1) | instskip(NEXT) | instid1(VALU_DEP_1)
	v_dual_mul_f32 v2, 0xbf763a35, v2 :: v_dual_add_f32 v51, v6, v20
	v_fmamk_f32 v10, v1, 0xbe8c1d8e, v2
	v_fma_f32 v1, 0xbe8c1d8e, v1, -v2
	v_add_f32_e32 v2, v19, v17
	v_sub_f32_e32 v46, v16, v18
	v_sub_f32_e32 v48, v17, v19
	v_add_f32_e32 v42, v12, v42
	v_add_f32_e32 v50, v10, v27
	v_add_f32_e32 v52, v1, v0
	s_delay_alu instid0(VALU_DEP_4) | instskip(SKIP_2) | instid1(VALU_DEP_3)
	v_dual_mul_f32 v12, 0xbe3c28d5, v46 :: v_dual_mul_f32 v11, 0xbe3c28d5, v48
	v_mul_f32_e32 v14, 0xbf06c442, v46
	v_mul_f32_e32 v17, 0x3f2c7751, v46
	v_fmamk_f32 v1, v2, 0xbf7ba420, v12
	s_delay_alu instid0(VALU_DEP_4) | instskip(SKIP_3) | instid1(VALU_DEP_4)
	v_fma_f32 v10, 0xbf7ba420, v49, -v11
	v_fmac_f32_e32 v11, 0xbf7ba420, v49
	v_fma_f32 v15, 0xbf59a7d5, v2, -v14
	v_fma_f32 v19, 0x3f3d2fb0, v2, -v17
	v_dual_add_f32 v1, v1, v21 :: v_dual_add_f32 v0, v10, v7
	v_fma_f32 v7, 0xbf7ba420, v2, -v12
	v_mul_f32_e32 v12, 0x3eb8f4ab, v46
	v_dual_add_f32 v6, v11, v8 :: v_dual_mul_f32 v21, 0xbf4c4adb, v46
	v_add_f32_e32 v19, v19, v31
	s_delay_alu instid0(VALU_DEP_4) | instskip(NEXT) | instid1(VALU_DEP_4)
	v_add_f32_e32 v7, v7, v3
	v_fma_f32 v11, 0x3f6eb680, v2, -v12
	s_delay_alu instid0(VALU_DEP_1) | instskip(SKIP_4) | instid1(VALU_DEP_3)
	v_add_f32_e32 v11, v11, v25
	v_mul_f32_e32 v25, 0x3f65296c, v46
	v_mul_f32_e32 v13, 0x3eb8f4ab, v48
	;; [unrolled: 1-line block ×4, first 2 shown]
	v_fma_f32 v10, 0x3f6eb680, v49, -v13
	v_fmac_f32_e32 v13, 0x3f6eb680, v49
	s_delay_alu instid0(VALU_DEP_3) | instskip(SKIP_1) | instid1(VALU_DEP_4)
	v_fma_f32 v16, 0x3f3d2fb0, v49, -v18
	v_dual_fmac_f32 v18, 0x3f3d2fb0, v49 :: v_dual_add_f32 v15, v15, v28
	v_add_f32_e32 v8, v10, v9
	v_fmamk_f32 v9, v2, 0x3f6eb680, v12
	v_fma_f32 v12, 0xbf59a7d5, v49, -v3
	v_dual_fmac_f32 v3, 0xbf59a7d5, v49 :: v_dual_add_f32 v10, v13, v22
	v_fmamk_f32 v13, v2, 0xbf59a7d5, v14
	v_mul_f32_e32 v22, 0xbf4c4adb, v48
	v_add_f32_e32 v18, v18, v29
	s_delay_alu instid0(VALU_DEP_4)
	v_dual_add_f32 v14, v3, v23 :: v_dual_fmamk_f32 v3, v2, 0x3f3d2fb0, v17
	v_fma_f32 v23, 0xbf1a4643, v2, -v21
	v_add_f32_e32 v16, v16, v33
	v_add_f32_e32 v12, v12, v26
	v_mul_f32_e32 v26, 0x3f65296c, v48
	v_add_f32_e32 v17, v3, v32
	v_fma_f32 v3, 0xbf1a4643, v49, -v22
	v_dual_fmac_f32 v22, 0xbf1a4643, v49 :: v_dual_add_f32 v23, v23, v35
	v_and_b32_e32 v35, 0xff, v115
	s_delay_alu instid0(VALU_DEP_3) | instskip(SKIP_1) | instid1(VALU_DEP_4)
	v_dual_add_f32 v13, v13, v34 :: v_dual_add_f32 v20, v3, v37
	v_fmamk_f32 v3, v2, 0xbf1a4643, v21
	v_add_f32_e32 v22, v22, v30
	v_mul_f32_e32 v30, 0xbf763a35, v48
	v_mul_lo_u16 v35, 0xf1, v35
	s_delay_alu instid0(VALU_DEP_4)
	v_dual_mul_f32 v34, 0x3f7ee86f, v48 :: v_dual_add_f32 v21, v3, v39
	v_fmamk_f32 v3, v2, 0x3ee437d1, v25
	v_mul_f32_e32 v31, 0xbf763a35, v46
	v_mul_f32_e32 v33, 0x3f7ee86f, v46
	v_add_f32_e32 v9, v9, v24
	v_fma_f32 v24, 0x3ee437d1, v49, -v26
	v_fma_f32 v32, 0x3dbcf732, v49, -v34
	v_fmamk_f32 v29, v2, 0xbe8c1d8e, v31
	v_fmac_f32_e32 v34, 0x3dbcf732, v49
	v_fmac_f32_e32 v26, 0x3ee437d1, v49
	v_add_f32_e32 v24, v24, v38
	s_delay_alu instid0(VALU_DEP_4)
	v_dual_add_f32 v32, v32, v45 :: v_dual_add_f32 v29, v29, v42
	v_fma_f32 v27, 0x3ee437d1, v2, -v25
	v_add_f32_e32 v25, v3, v36
	v_fma_f32 v3, 0xbe8c1d8e, v49, -v30
	v_mul_lo_u16 v36, v115, 17
	v_fma_f32 v37, 0x3dbcf732, v2, -v33
	v_fmac_f32_e32 v30, 0xbe8c1d8e, v49
	v_add_f32_e32 v34, v34, v51
	v_add_f32_e32 v28, v3, v43
	v_fma_f32 v3, 0xbe8c1d8e, v2, -v31
	v_dual_add_f32 v26, v26, v41 :: v_dual_add_f32 v27, v27, v40
	s_delay_alu instid0(VALU_DEP_2) | instskip(SKIP_3) | instid1(VALU_DEP_3)
	v_dual_add_f32 v30, v30, v44 :: v_dual_add_f32 v31, v3, v47
	v_fmamk_f32 v3, v2, 0x3dbcf732, v33
	v_lshrrev_b16 v2, 12, v35
	v_add_f32_e32 v35, v37, v52
	v_add_f32_e32 v33, v3, v50
	v_and_b32_e32 v3, 0xffff, v36
	s_delay_alu instid0(VALU_DEP_4) | instskip(SKIP_1) | instid1(VALU_DEP_3)
	v_mul_lo_u16 v36, v2, 17
	v_and_b32_e32 v2, 0xffff, v2
	v_lshlrev_b32_e32 v138, 3, v3
	s_delay_alu instid0(VALU_DEP_3)
	v_sub_nc_u16 v3, v115, v36
	ds_store_2addr_b64 v138, v[4:5], v[0:1] offset1:1
	ds_store_2addr_b64 v138, v[8:9], v[12:13] offset0:2 offset1:3
	ds_store_2addr_b64 v138, v[16:17], v[20:21] offset0:4 offset1:5
	;; [unrolled: 1-line block ×3, first 2 shown]
	v_and_b32_e32 v3, 0xff, v3
	ds_store_2addr_b64 v138, v[32:33], v[34:35] offset0:8 offset1:9
	ds_store_2addr_b64 v138, v[30:31], v[26:27] offset0:10 offset1:11
	ds_store_2addr_b64 v138, v[22:23], v[18:19] offset0:12 offset1:13
	ds_store_2addr_b64 v138, v[14:15], v[10:11] offset0:14 offset1:15
	ds_store_b64 v138, v[6:7] offset:128
	global_wb scope:SCOPE_SE
	s_wait_dscnt 0x0
	s_barrier_signal -1
	s_barrier_wait -1
	v_lshlrev_b32_e32 v0, 7, v3
	global_inv scope:SCOPE_SE
	s_clause 0x7
	global_load_b128 v[24:27], v0, s[10:11]
	global_load_b128 v[28:31], v0, s[10:11] offset:16
	global_load_b128 v[32:35], v0, s[10:11] offset:32
	;; [unrolled: 1-line block ×7, first 2 shown]
	ds_load_2addr_b64 v[63:66], v135 offset1:102
	ds_load_2addr_b64 v[4:7], v56 offset0:76 offset1:178
	ds_load_2addr_b64 v[8:11], v60 offset0:152 offset1:254
	;; [unrolled: 1-line block ×7, first 2 shown]
	ds_load_b64 v[0:1], v135 offset:13056
	v_mul_u32_u24_e32 v2, 0x121, v2
	global_wb scope:SCOPE_SE
	s_wait_loadcnt_dscnt 0x0
	s_barrier_signal -1
	s_barrier_wait -1
	global_inv scope:SCOPE_SE
	v_mul_f32_e32 v12, v66, v25
	v_mul_f32_e32 v22, v65, v25
	v_dual_mul_f32 v13, v7, v29 :: v_dual_mul_f32 v20, v8, v31
	v_mul_f32_e32 v16, v10, v33
	s_delay_alu instid0(VALU_DEP_4) | instskip(SKIP_4) | instid1(VALU_DEP_4)
	v_fma_f32 v23, v65, v24, -v12
	v_mul_f32_e32 v12, v5, v27
	v_dual_mul_f32 v65, v4, v27 :: v_dual_fmac_f32 v22, v66, v24
	v_mul_f32_e32 v66, v6, v29
	v_fma_f32 v120, v6, v28, -v13
	v_fma_f32 v79, v4, v26, -v12
	v_mul_f32_e32 v4, v9, v31
	v_fmac_f32_e32 v65, v5, v26
	v_add_f32_e32 v6, v64, v22
	v_fmac_f32_e32 v66, v7, v28
	v_mul_f32_e32 v5, v11, v33
	v_fma_f32 v21, v8, v30, -v4
	v_mul_f32_e32 v4, v68, v35
	v_add_f32_e32 v6, v6, v65
	v_fmac_f32_e32 v20, v9, v30
	v_fmac_f32_e32 v16, v11, v32
	v_fma_f32 v17, v10, v32, -v5
	v_fma_f32 v13, v67, v34, -v4
	v_dual_add_f32 v4, v63, v23 :: v_dual_add_f32 v11, v6, v66
	v_dual_mul_f32 v12, v67, v35 :: v_dual_mul_f32 v5, v70, v37
	v_mul_f32_e32 v8, v69, v37
	s_delay_alu instid0(VALU_DEP_3) | instskip(NEXT) | instid1(VALU_DEP_3)
	v_dual_add_f32 v4, v4, v79 :: v_dual_add_f32 v11, v11, v20
	v_fmac_f32_e32 v12, v68, v34
	s_delay_alu instid0(VALU_DEP_4) | instskip(NEXT) | instid1(VALU_DEP_4)
	v_fma_f32 v9, v69, v36, -v5
	v_fmac_f32_e32 v8, v70, v36
	s_delay_alu instid0(VALU_DEP_4) | instskip(SKIP_3) | instid1(VALU_DEP_4)
	v_add_f32_e32 v7, v4, v120
	v_dual_add_f32 v18, v11, v16 :: v_dual_mul_f32 v5, v72, v39
	v_mul_f32_e32 v4, v71, v39
	v_mul_f32_e32 v10, v74, v41
	v_add_f32_e32 v14, v7, v21
	s_delay_alu instid0(VALU_DEP_4)
	v_add_f32_e32 v18, v18, v12
	v_fma_f32 v5, v71, v38, -v5
	v_fmac_f32_e32 v4, v72, v38
	v_mul_f32_e32 v6, v73, v41
	v_dual_add_f32 v14, v14, v17 :: v_dual_mul_f32 v67, v117, v47
	v_add_f32_e32 v68, v18, v8
	v_fma_f32 v7, v73, v40, -v10
	v_mul_f32_e32 v10, v75, v43
	s_delay_alu instid0(VALU_DEP_4) | instskip(SKIP_3) | instid1(VALU_DEP_4)
	v_add_f32_e32 v14, v14, v13
	v_fmac_f32_e32 v6, v74, v40
	v_mul_f32_e32 v18, v116, v47
	v_mul_f32_e32 v72, v56, v51
	v_dual_fmac_f32 v10, v76, v42 :: v_dual_add_f32 v19, v14, v9
	v_mul_f32_e32 v14, v77, v45
	v_mul_f32_e32 v73, v59, v53
	v_dual_mul_f32 v15, v76, v43 :: v_dual_mul_f32 v70, v118, v49
	s_delay_alu instid0(VALU_DEP_4)
	v_add_f32_e32 v69, v19, v5
	v_fma_f32 v19, v116, v46, -v67
	v_add_f32_e32 v67, v68, v4
	v_dual_fmac_f32 v14, v78, v44 :: v_dual_mul_f32 v71, v57, v51
	v_fmac_f32_e32 v72, v57, v50
	v_fma_f32 v57, v58, v52, -v73
	s_delay_alu instid0(VALU_DEP_4)
	v_add_f32_e32 v67, v67, v6
	v_fmac_f32_e32 v18, v117, v46
	v_fma_f32 v11, v75, v42, -v15
	v_dual_mul_f32 v15, v78, v45 :: v_dual_add_f32 v68, v69, v7
	v_add_f32_e32 v143, v79, v57
	v_add_f32_e32 v67, v67, v10
	v_fmac_f32_e32 v70, v119, v48
	v_fma_f32 v56, v56, v50, -v71
	v_dual_mul_f32 v71, v0, v55 :: v_dual_mul_f32 v58, v58, v53
	s_delay_alu instid0(VALU_DEP_4) | instskip(SKIP_2) | instid1(VALU_DEP_4)
	v_add_f32_e32 v67, v67, v14
	v_fma_f32 v15, v77, v44, -v15
	v_mul_f32_e32 v73, v1, v55
	v_dual_fmac_f32 v71, v1, v54 :: v_dual_fmac_f32 v58, v59, v52
	s_delay_alu instid0(VALU_DEP_4) | instskip(SKIP_1) | instid1(VALU_DEP_4)
	v_dual_add_f32 v67, v67, v18 :: v_dual_add_f32 v68, v68, v11
	v_mul_f32_e32 v69, v119, v49
	v_fma_f32 v0, v0, v54, -v73
	s_delay_alu instid0(VALU_DEP_4) | instskip(NEXT) | instid1(VALU_DEP_4)
	v_sub_f32_e32 v141, v65, v58
	v_dual_add_f32 v1, v67, v70 :: v_dual_add_f32 v68, v68, v15
	s_delay_alu instid0(VALU_DEP_4) | instskip(NEXT) | instid1(VALU_DEP_2)
	v_fma_f32 v69, v118, v48, -v69
	v_dual_add_f32 v1, v1, v72 :: v_dual_add_f32 v68, v68, v19
	s_delay_alu instid0(VALU_DEP_1) | instskip(NEXT) | instid1(VALU_DEP_1)
	v_dual_add_f32 v1, v1, v58 :: v_dual_add_f32 v68, v68, v69
	v_add_f32_e32 v1, v1, v71
	v_sub_f32_e32 v59, v22, v71
	s_delay_alu instid0(VALU_DEP_3) | instskip(SKIP_2) | instid1(VALU_DEP_4)
	v_add_f32_e32 v67, v68, v56
	v_sub_f32_e32 v68, v23, v0
	v_dual_add_f32 v23, v23, v0 :: v_dual_add_f32 v22, v22, v71
	v_mul_f32_e32 v73, 0xbeb8f4ab, v59
	v_mul_f32_e32 v71, 0xbf2c7751, v59
	;; [unrolled: 1-line block ×8, first 2 shown]
	v_fma_f32 v75, 0x3f6eb680, v23, -v73
	v_fmac_f32_e32 v73, 0x3f6eb680, v23
	v_fma_f32 v76, 0x3f3d2fb0, v23, -v71
	v_fma_f32 v137, 0xbf59a7d5, v23, -v133
	;; [unrolled: 1-line block ×3, first 2 shown]
	v_fmac_f32_e32 v59, 0xbf7ba420, v23
	v_add_f32_e32 v73, v63, v73
	v_fmac_f32_e32 v71, 0x3f3d2fb0, v23
	v_fma_f32 v117, 0x3ee437d1, v23, -v78
	v_fmac_f32_e32 v78, 0x3ee437d1, v23
	v_dual_add_f32 v59, v63, v59 :: v_dual_mul_f32 v144, 0xbf2c7751, v141
	v_fma_f32 v123, 0x3dbcf732, v23, -v121
	v_fmac_f32_e32 v121, 0x3dbcf732, v23
	v_fma_f32 v126, 0xbe8c1d8e, v23, -v125
	v_fmac_f32_e32 v125, 0xbe8c1d8e, v23
	v_fma_f32 v130, 0xbf1a4643, v23, -v128
	v_dual_add_f32 v137, v63, v137 :: v_dual_fmac_f32 v128, 0xbf1a4643, v23
	v_fmac_f32_e32 v133, 0xbf59a7d5, v23
	v_add_f32_e32 v23, v65, v58
	v_fma_f32 v58, 0x3f3d2fb0, v143, -v144
	v_dual_fmac_f32 v144, 0x3f3d2fb0, v143 :: v_dual_add_f32 v121, v63, v121
	v_add_f32_e32 v67, v67, v57
	v_sub_f32_e32 v57, v79, v57
	v_mul_f32_e32 v79, 0xbf4c4adb, v141
	s_delay_alu instid0(VALU_DEP_4)
	v_dual_add_f32 v73, v144, v73 :: v_dual_mul_f32 v118, 0xbf65296c, v68
	v_mul_f32_e32 v77, 0xbf2c7751, v68
	v_mul_f32_e32 v127, 0xbf763a35, v68
	;; [unrolled: 1-line block ×3, first 2 shown]
	v_add_f32_e32 v133, v63, v133
	v_fmamk_f32 v119, v22, 0x3ee437d1, v118
	v_mul_f32_e32 v134, 0xbf06c442, v68
	v_fmamk_f32 v129, v22, 0xbe8c1d8e, v127
	v_fma_f32 v127, 0xbe8c1d8e, v22, -v127
	s_delay_alu instid0(VALU_DEP_4)
	v_dual_add_f32 v0, v67, v0 :: v_dual_add_f32 v119, v64, v119
	v_fmamk_f32 v116, v22, 0x3f3d2fb0, v77
	v_fma_f32 v77, 0x3f3d2fb0, v22, -v77
	v_dual_add_f32 v129, v64, v129 :: v_dual_mul_f32 v122, 0xbf7ee86f, v68
	v_fma_f32 v118, 0x3ee437d1, v22, -v118
	v_add_f32_e32 v127, v64, v127
	s_delay_alu instid0(VALU_DEP_4)
	v_dual_add_f32 v77, v64, v77 :: v_dual_mul_f32 v74, 0xbeb8f4ab, v68
	v_mul_f32_e32 v68, 0xbe3c28d5, v68
	v_fmamk_f32 v124, v22, 0x3dbcf732, v122
	v_fma_f32 v122, 0x3dbcf732, v22, -v122
	v_fmamk_f32 v132, v22, 0xbf1a4643, v131
	v_fmamk_f32 v67, v22, 0x3f6eb680, v74
	v_fma_f32 v74, 0x3f6eb680, v22, -v74
	v_fma_f32 v131, 0xbf1a4643, v22, -v131
	v_fmamk_f32 v139, v22, 0xbf59a7d5, v134
	v_fma_f32 v134, 0xbf59a7d5, v22, -v134
	v_fmamk_f32 v142, v22, 0xbf7ba420, v68
	v_fma_f32 v22, 0xbf7ba420, v22, -v68
	v_mul_f32_e32 v65, 0xbf2c7751, v57
	v_add_f32_e32 v75, v63, v75
	v_dual_add_f32 v67, v64, v67 :: v_dual_add_f32 v76, v63, v76
	v_dual_add_f32 v74, v64, v74 :: v_dual_add_f32 v71, v63, v71
	v_add_f32_e32 v117, v63, v117
	v_add_f32_e32 v78, v63, v78
	v_dual_add_f32 v118, v64, v118 :: v_dual_add_f32 v123, v63, v123
	v_add_f32_e32 v124, v64, v124
	v_add_f32_e32 v122, v64, v122
	;; [unrolled: 1-line block ×6, first 2 shown]
	v_dual_add_f32 v128, v63, v128 :: v_dual_add_f32 v131, v64, v131
	v_add_f32_e32 v139, v64, v139
	v_add_f32_e32 v134, v64, v134
	;; [unrolled: 1-line block ×4, first 2 shown]
	v_dual_add_f32 v22, v64, v22 :: v_dual_fmamk_f32 v63, v23, 0x3f3d2fb0, v65
	v_mul_f32_e32 v142, 0xbe3c28d5, v57
	v_add_f32_e32 v116, v64, v116
	v_mul_f32_e32 v64, 0xbf7ee86f, v141
	v_add_f32_e32 v58, v58, v75
	v_fma_f32 v65, 0x3f3d2fb0, v23, -v65
	v_mul_f32_e32 v75, 0xbf7ee86f, v57
	v_add_f32_e32 v63, v63, v67
	v_fma_f32 v67, 0x3dbcf732, v143, -v64
	s_delay_alu instid0(VALU_DEP_1) | instskip(NEXT) | instid1(VALU_DEP_4)
	v_dual_fmac_f32 v64, 0x3dbcf732, v143 :: v_dual_add_f32 v67, v67, v76
	v_dual_add_f32 v65, v65, v74 :: v_dual_fmamk_f32 v74, v23, 0x3dbcf732, v75
	v_fma_f32 v75, 0x3dbcf732, v23, -v75
	v_fma_f32 v76, 0xbf1a4643, v143, -v79
	s_delay_alu instid0(VALU_DEP_4) | instskip(NEXT) | instid1(VALU_DEP_4)
	v_add_f32_e32 v64, v64, v71
	v_dual_fmac_f32 v79, 0xbf1a4643, v143 :: v_dual_add_f32 v74, v74, v116
	v_mul_f32_e32 v116, 0xbf4c4adb, v57
	v_add_f32_e32 v71, v75, v77
	v_mul_f32_e32 v75, 0xbe3c28d5, v141
	s_delay_alu instid0(VALU_DEP_3) | instskip(SKIP_1) | instid1(VALU_DEP_3)
	v_dual_add_f32 v76, v76, v117 :: v_dual_fmamk_f32 v77, v23, 0xbf1a4643, v116
	v_fma_f32 v116, 0xbf1a4643, v23, -v116
	v_fma_f32 v117, 0xbf7ba420, v143, -v75
	v_dual_fmac_f32 v75, 0xbf7ba420, v143 :: v_dual_add_f32 v78, v79, v78
	s_delay_alu instid0(VALU_DEP_4) | instskip(NEXT) | instid1(VALU_DEP_3)
	v_add_f32_e32 v77, v77, v119
	v_dual_add_f32 v79, v116, v118 :: v_dual_add_f32 v116, v117, v123
	v_fmamk_f32 v117, v23, 0xbf7ba420, v142
	v_mul_f32_e32 v118, 0x3f06c442, v141
	v_fma_f32 v119, 0xbf7ba420, v23, -v142
	v_mul_f32_e32 v123, 0x3f06c442, v57
	v_add_f32_e32 v75, v75, v121
	v_add_f32_e32 v117, v117, v124
	v_fma_f32 v124, 0xbf59a7d5, v143, -v118
	s_delay_alu instid0(VALU_DEP_4) | instskip(SKIP_2) | instid1(VALU_DEP_3)
	v_dual_fmac_f32 v118, 0xbf59a7d5, v143 :: v_dual_fmamk_f32 v121, v23, 0xbf59a7d5, v123
	v_dual_add_f32 v119, v119, v122 :: v_dual_mul_f32 v122, 0x3f763a35, v141
	v_fma_f32 v123, 0xbf59a7d5, v23, -v123
	v_add_f32_e32 v118, v118, v125
	s_delay_alu instid0(VALU_DEP_4) | instskip(SKIP_4) | instid1(VALU_DEP_4)
	v_add_f32_e32 v121, v121, v129
	v_dual_mul_f32 v129, 0x3f763a35, v57 :: v_dual_add_f32 v124, v124, v126
	v_fma_f32 v126, 0xbe8c1d8e, v143, -v122
	v_mul_f32_e32 v125, 0x3f65296c, v141
	v_add_f32_e32 v123, v123, v127
	v_dual_fmamk_f32 v127, v23, 0xbe8c1d8e, v129 :: v_dual_fmac_f32 v122, 0xbe8c1d8e, v143
	s_delay_alu instid0(VALU_DEP_4)
	v_add_f32_e32 v126, v126, v130
	v_fma_f32 v129, 0xbe8c1d8e, v23, -v129
	v_fma_f32 v130, 0x3ee437d1, v143, -v125
	v_fmac_f32_e32 v125, 0x3ee437d1, v143
	v_dual_mul_f32 v142, 0x3f65296c, v57 :: v_dual_add_f32 v127, v127, v132
	v_mul_f32_e32 v57, 0x3eb8f4ab, v57
	s_delay_alu instid0(VALU_DEP_3)
	v_add_f32_e32 v125, v125, v133
	v_sub_f32_e32 v133, v66, v72
	v_add_f32_e32 v122, v122, v128
	v_dual_add_f32 v128, v129, v131 :: v_dual_mul_f32 v131, 0x3eb8f4ab, v141
	v_add_f32_e32 v129, v130, v137
	v_fma_f32 v132, 0x3ee437d1, v23, -v142
	v_fmamk_f32 v130, v23, 0x3ee437d1, v142
	s_delay_alu instid0(VALU_DEP_4) | instskip(NEXT) | instid1(VALU_DEP_3)
	v_fma_f32 v137, 0x3f6eb680, v143, -v131
	v_dual_fmac_f32 v131, 0x3f6eb680, v143 :: v_dual_add_f32 v132, v132, v134
	s_delay_alu instid0(VALU_DEP_2)
	v_add_f32_e32 v134, v137, v140
	v_add_f32_e32 v137, v120, v56
	v_sub_f32_e32 v56, v120, v56
	v_dual_add_f32 v130, v130, v139 :: v_dual_fmamk_f32 v139, v23, 0x3f6eb680, v57
	v_mul_f32_e32 v120, 0xbf65296c, v133
	v_fma_f32 v23, 0x3f6eb680, v23, -v57
	v_add_f32_e32 v57, v66, v72
	v_dual_mul_f32 v66, 0xbf65296c, v56 :: v_dual_add_f32 v59, v131, v59
	s_delay_alu instid0(VALU_DEP_4) | instskip(NEXT) | instid1(VALU_DEP_4)
	v_fma_f32 v72, 0x3ee437d1, v137, -v120
	v_dual_add_f32 v22, v23, v22 :: v_dual_mul_f32 v23, 0xbf4c4adb, v133
	s_delay_alu instid0(VALU_DEP_3) | instskip(SKIP_1) | instid1(VALU_DEP_4)
	v_fmamk_f32 v131, v57, 0x3ee437d1, v66
	v_fmac_f32_e32 v120, 0x3ee437d1, v137
	v_add_f32_e32 v58, v72, v58
	v_fma_f32 v66, 0x3ee437d1, v57, -v66
	v_fma_f32 v72, 0xbf1a4643, v137, -v23
	v_add_f32_e32 v63, v131, v63
	v_mul_f32_e32 v131, 0xbf4c4adb, v56
	v_add_f32_e32 v73, v120, v73
	s_delay_alu instid0(VALU_DEP_4) | instskip(SKIP_1) | instid1(VALU_DEP_4)
	v_dual_add_f32 v65, v66, v65 :: v_dual_add_f32 v66, v72, v67
	v_mul_f32_e32 v67, 0x3e3c28d5, v133
	v_fmamk_f32 v72, v57, 0xbf1a4643, v131
	v_fmac_f32_e32 v23, 0xbf1a4643, v137
	v_fma_f32 v120, 0xbf1a4643, v57, -v131
	v_mul_f32_e32 v131, 0x3e3c28d5, v56
	v_add_f32_e32 v68, v139, v68
	v_fma_f32 v139, 0xbf7ba420, v137, -v67
	s_delay_alu instid0(VALU_DEP_4) | instskip(NEXT) | instid1(VALU_DEP_4)
	v_dual_add_f32 v23, v23, v64 :: v_dual_add_f32 v64, v120, v71
	v_dual_fmamk_f32 v71, v57, 0xbf7ba420, v131 :: v_dual_add_f32 v72, v72, v74
	s_delay_alu instid0(VALU_DEP_3)
	v_add_f32_e32 v74, v139, v76
	v_mul_f32_e32 v76, 0x3f763a35, v133
	v_fmac_f32_e32 v67, 0xbf7ba420, v137
	v_fma_f32 v120, 0xbf7ba420, v57, -v131
	v_add_f32_e32 v71, v71, v77
	v_mul_f32_e32 v77, 0x3f763a35, v56
	v_fma_f32 v131, 0xbe8c1d8e, v137, -v76
	s_delay_alu instid0(VALU_DEP_4) | instskip(SKIP_1) | instid1(VALU_DEP_4)
	v_dual_add_f32 v67, v67, v78 :: v_dual_add_f32 v78, v120, v79
	v_fmac_f32_e32 v76, 0xbe8c1d8e, v137
	v_fmamk_f32 v120, v57, 0xbe8c1d8e, v77
	v_fma_f32 v77, 0xbe8c1d8e, v57, -v77
	v_dual_mul_f32 v79, 0x3f2c7751, v133 :: v_dual_add_f32 v116, v131, v116
	s_delay_alu instid0(VALU_DEP_4) | instskip(NEXT) | instid1(VALU_DEP_3)
	v_add_f32_e32 v75, v76, v75
	v_dual_add_f32 v117, v120, v117 :: v_dual_add_f32 v76, v77, v119
	v_mul_f32_e32 v119, 0xbeb8f4ab, v133
	s_delay_alu instid0(VALU_DEP_4) | instskip(SKIP_1) | instid1(VALU_DEP_3)
	v_fma_f32 v131, 0x3f3d2fb0, v137, -v79
	v_fmac_f32_e32 v79, 0x3f3d2fb0, v137
	v_fma_f32 v139, 0x3f6eb680, v137, -v119
	v_fmac_f32_e32 v119, 0x3f6eb680, v137
	s_delay_alu instid0(VALU_DEP_4) | instskip(NEXT) | instid1(VALU_DEP_4)
	v_add_f32_e32 v77, v131, v124
	v_add_f32_e32 v79, v79, v118
	s_delay_alu instid0(VALU_DEP_3) | instskip(SKIP_1) | instid1(VALU_DEP_2)
	v_dual_add_f32 v119, v119, v122 :: v_dual_mul_f32 v120, 0x3f2c7751, v56
	v_mul_f32_e32 v131, 0xbeb8f4ab, v56
	v_fmamk_f32 v124, v57, 0x3f3d2fb0, v120
	v_fma_f32 v120, 0x3f3d2fb0, v57, -v120
	s_delay_alu instid0(VALU_DEP_2) | instskip(NEXT) | instid1(VALU_DEP_2)
	v_add_f32_e32 v121, v124, v121
	v_add_f32_e32 v118, v120, v123
	v_dual_fmamk_f32 v120, v57, 0x3f6eb680, v131 :: v_dual_add_f32 v123, v139, v126
	v_mul_f32_e32 v124, 0xbf7ee86f, v133
	v_fma_f32 v126, 0x3f6eb680, v57, -v131
	s_delay_alu instid0(VALU_DEP_3) | instskip(NEXT) | instid1(VALU_DEP_3)
	v_dual_add_f32 v120, v120, v127 :: v_dual_mul_f32 v127, 0xbf7ee86f, v56
	v_fma_f32 v131, 0x3dbcf732, v137, -v124
	s_delay_alu instid0(VALU_DEP_3)
	v_add_f32_e32 v122, v126, v128
	v_mul_f32_e32 v126, 0xbf06c442, v133
	v_fmac_f32_e32 v124, 0x3dbcf732, v137
	v_fmamk_f32 v128, v57, 0x3dbcf732, v127
	v_fma_f32 v127, 0x3dbcf732, v57, -v127
	v_add_f32_e32 v129, v131, v129
	v_fma_f32 v131, 0xbf59a7d5, v137, -v126
	v_add_f32_e32 v124, v124, v125
	s_delay_alu instid0(VALU_DEP_4) | instskip(SKIP_4) | instid1(VALU_DEP_4)
	v_dual_add_f32 v128, v128, v130 :: v_dual_add_f32 v125, v127, v132
	v_mul_f32_e32 v56, 0xbf06c442, v56
	v_sub_f32_e32 v132, v21, v69
	v_sub_f32_e32 v130, v20, v70
	v_dual_add_f32 v127, v131, v134 :: v_dual_fmac_f32 v126, 0xbf59a7d5, v137
	v_fmamk_f32 v131, v57, 0xbf59a7d5, v56
	v_add_f32_e32 v21, v21, v69
	s_delay_alu instid0(VALU_DEP_4) | instskip(SKIP_3) | instid1(VALU_DEP_4)
	v_mul_f32_e32 v69, 0xbf7ee86f, v130
	v_fma_f32 v56, 0xbf59a7d5, v57, -v56
	v_dual_add_f32 v20, v20, v70 :: v_dual_mul_f32 v57, 0xbf7ee86f, v132
	v_add_f32_e32 v59, v126, v59
	v_fma_f32 v70, 0x3dbcf732, v21, -v69
	s_delay_alu instid0(VALU_DEP_4)
	v_add_f32_e32 v22, v56, v22
	v_mul_f32_e32 v126, 0xbe3c28d5, v130
	v_fmamk_f32 v56, v20, 0x3dbcf732, v57
	v_fma_f32 v57, 0x3dbcf732, v20, -v57
	v_add_f32_e32 v68, v131, v68
	v_dual_add_f32 v58, v70, v58 :: v_dual_fmac_f32 v69, 0x3dbcf732, v21
	s_delay_alu instid0(VALU_DEP_4) | instskip(SKIP_4) | instid1(VALU_DEP_3)
	v_add_f32_e32 v56, v56, v63
	v_fma_f32 v63, 0xbf7ba420, v21, -v126
	v_dual_mul_f32 v70, 0xbe3c28d5, v132 :: v_dual_add_f32 v57, v57, v65
	v_mul_f32_e32 v65, 0x3f763a35, v130
	v_add_f32_e32 v69, v69, v73
	v_dual_add_f32 v63, v63, v66 :: v_dual_fmamk_f32 v66, v20, 0xbf7ba420, v70
	v_fmac_f32_e32 v126, 0xbf7ba420, v21
	v_fma_f32 v70, 0xbf7ba420, v20, -v70
	v_fma_f32 v73, 0xbe8c1d8e, v21, -v65
	v_mul_f32_e32 v131, 0x3f763a35, v132
	v_add_f32_e32 v66, v66, v72
	v_add_f32_e32 v23, v126, v23
	;; [unrolled: 1-line block ×4, first 2 shown]
	v_fmamk_f32 v72, v20, 0xbe8c1d8e, v131
	v_mul_f32_e32 v73, 0x3eb8f4ab, v130
	v_fmac_f32_e32 v65, 0xbe8c1d8e, v21
	v_fma_f32 v74, 0xbe8c1d8e, v20, -v131
	v_add_lshl_u32 v137, v2, v3, 3
	v_add_f32_e32 v71, v72, v71
	v_fma_f32 v72, 0x3f6eb680, v21, -v73
	v_add_f32_e32 v65, v65, v67
	v_dual_add_f32 v67, v74, v78 :: v_dual_mul_f32 v126, 0x3eb8f4ab, v132
	s_delay_alu instid0(VALU_DEP_3) | instskip(SKIP_1) | instid1(VALU_DEP_3)
	v_dual_fmac_f32 v73, 0x3f6eb680, v21 :: v_dual_add_f32 v72, v72, v116
	v_mul_f32_e32 v78, 0xbf65296c, v130
                                        ; implicit-def: $vgpr133
	v_fmamk_f32 v74, v20, 0x3f6eb680, v126
	v_fma_f32 v116, 0x3f6eb680, v20, -v126
	s_delay_alu instid0(VALU_DEP_4) | instskip(NEXT) | instid1(VALU_DEP_2)
	v_dual_add_f32 v73, v73, v75 :: v_dual_mul_f32 v126, 0xbf65296c, v132
	v_dual_add_f32 v74, v74, v117 :: v_dual_add_f32 v75, v116, v76
	v_fma_f32 v117, 0x3ee437d1, v21, -v78
	s_delay_alu instid0(VALU_DEP_3) | instskip(SKIP_1) | instid1(VALU_DEP_3)
	v_fmamk_f32 v116, v20, 0x3ee437d1, v126
	v_fmac_f32_e32 v78, 0x3ee437d1, v21
	v_add_f32_e32 v77, v117, v77
	s_delay_alu instid0(VALU_DEP_3) | instskip(SKIP_3) | instid1(VALU_DEP_3)
	v_add_f32_e32 v116, v116, v121
	v_mul_f32_e32 v76, 0xbf06c442, v130
	v_fma_f32 v117, 0x3ee437d1, v20, -v126
	v_add_f32_e32 v78, v78, v79
	v_fma_f32 v126, 0xbf59a7d5, v21, -v76
	s_delay_alu instid0(VALU_DEP_3) | instskip(NEXT) | instid1(VALU_DEP_2)
	v_add_f32_e32 v79, v117, v118
	v_add_f32_e32 v117, v126, v123
	v_mul_f32_e32 v123, 0x3f4c4adb, v132
	v_mul_f32_e32 v121, 0x3f4c4adb, v130
	;; [unrolled: 1-line block ×3, first 2 shown]
	s_delay_alu instid0(VALU_DEP_1) | instskip(NEXT) | instid1(VALU_DEP_1)
	v_fmamk_f32 v118, v20, 0xbf59a7d5, v131
	v_add_f32_e32 v118, v118, v120
	s_delay_alu instid0(VALU_DEP_4) | instskip(SKIP_2) | instid1(VALU_DEP_3)
	v_fma_f32 v120, 0xbf1a4643, v21, -v121
	v_fmac_f32_e32 v121, 0xbf1a4643, v21
	v_fma_f32 v126, 0xbf59a7d5, v20, -v131
	v_add_f32_e32 v120, v120, v129
	v_fmac_f32_e32 v76, 0xbf59a7d5, v21
	s_delay_alu instid0(VALU_DEP_3) | instskip(NEXT) | instid1(VALU_DEP_2)
	v_dual_add_f32 v122, v126, v122 :: v_dual_add_f32 v121, v121, v124
	v_dual_mul_f32 v129, 0x3f2c7751, v132 :: v_dual_add_f32 v76, v76, v119
	v_fmamk_f32 v119, v20, 0xbf1a4643, v123
	v_mul_f32_e32 v126, 0x3f2c7751, v130
	v_fma_f32 v123, 0xbf1a4643, v20, -v123
	s_delay_alu instid0(VALU_DEP_3) | instskip(NEXT) | instid1(VALU_DEP_3)
	v_add_f32_e32 v119, v119, v128
	v_fma_f32 v128, 0x3f3d2fb0, v21, -v126
	s_delay_alu instid0(VALU_DEP_3) | instskip(NEXT) | instid1(VALU_DEP_2)
	v_add_f32_e32 v123, v123, v125
	v_dual_fmac_f32 v126, 0x3f3d2fb0, v21 :: v_dual_add_f32 v125, v128, v127
	v_add_f32_e32 v128, v17, v19
	v_dual_sub_f32 v17, v17, v19 :: v_dual_sub_f32 v124, v16, v18
	v_fmamk_f32 v127, v20, 0x3f3d2fb0, v129
	v_fma_f32 v19, 0x3f3d2fb0, v20, -v129
	v_dual_add_f32 v16, v16, v18 :: v_dual_add_f32 v59, v126, v59
	s_delay_alu instid0(VALU_DEP_4) | instskip(NEXT) | instid1(VALU_DEP_4)
	v_mul_f32_e32 v130, 0xbf763a35, v124
	v_dual_mul_f32 v20, 0xbf763a35, v17 :: v_dual_add_f32 v21, v127, v68
	s_delay_alu instid0(VALU_DEP_4) | instskip(SKIP_1) | instid1(VALU_DEP_4)
	v_add_f32_e32 v19, v19, v22
	v_mul_f32_e32 v127, 0xbf65296c, v17
	v_fma_f32 v18, 0xbe8c1d8e, v128, -v130
	v_fmac_f32_e32 v130, 0xbe8c1d8e, v128
	s_delay_alu instid0(VALU_DEP_2) | instskip(NEXT) | instid1(VALU_DEP_2)
	v_add_f32_e32 v18, v18, v58
	v_dual_fmamk_f32 v22, v16, 0xbe8c1d8e, v20 :: v_dual_add_f32 v69, v130, v69
	v_mul_f32_e32 v58, 0x3f06c442, v124
	v_fma_f32 v20, 0xbe8c1d8e, v16, -v20
	s_delay_alu instid0(VALU_DEP_3) | instskip(NEXT) | instid1(VALU_DEP_3)
	v_add_f32_e32 v22, v22, v56
	v_fma_f32 v56, 0xbf59a7d5, v128, -v58
	v_fmac_f32_e32 v58, 0xbf59a7d5, v128
	s_delay_alu instid0(VALU_DEP_4) | instskip(NEXT) | instid1(VALU_DEP_3)
	v_add_f32_e32 v20, v20, v57
	v_add_f32_e32 v56, v56, v63
	s_delay_alu instid0(VALU_DEP_3) | instskip(NEXT) | instid1(VALU_DEP_1)
	v_dual_add_f32 v23, v58, v23 :: v_dual_mul_f32 v68, 0x3f06c442, v17
	v_fmamk_f32 v57, v16, 0xbf59a7d5, v68
	v_fma_f32 v63, 0xbf59a7d5, v16, -v68
	s_delay_alu instid0(VALU_DEP_2) | instskip(NEXT) | instid1(VALU_DEP_2)
	v_dual_mul_f32 v68, 0x3f2c7751, v17 :: v_dual_add_f32 v57, v57, v66
	v_add_f32_e32 v58, v63, v64
	v_mul_f32_e32 v126, 0x3f2c7751, v124
	v_mul_f32_e32 v63, 0xbf65296c, v124
	s_delay_alu instid0(VALU_DEP_2) | instskip(NEXT) | instid1(VALU_DEP_1)
	v_fma_f32 v66, 0x3f3d2fb0, v128, -v126
	v_add_f32_e32 v64, v66, v70
	s_delay_alu instid0(VALU_DEP_3) | instskip(SKIP_3) | instid1(VALU_DEP_3)
	v_fma_f32 v70, 0x3ee437d1, v128, -v63
	v_fmac_f32_e32 v63, 0x3ee437d1, v128
	v_fmamk_f32 v66, v16, 0x3f3d2fb0, v68
	v_fma_f32 v68, 0x3f3d2fb0, v16, -v68
	v_dual_add_f32 v63, v63, v73 :: v_dual_fmac_f32 v126, 0x3f3d2fb0, v128
	s_delay_alu instid0(VALU_DEP_3) | instskip(NEXT) | instid1(VALU_DEP_3)
	v_add_f32_e32 v66, v66, v71
	v_dual_add_f32 v67, v68, v67 :: v_dual_add_f32 v68, v70, v72
	s_delay_alu instid0(VALU_DEP_3) | instskip(SKIP_3) | instid1(VALU_DEP_4)
	v_dual_fmamk_f32 v70, v16, 0x3ee437d1, v127 :: v_dual_add_f32 v65, v126, v65
	v_fma_f32 v72, 0x3ee437d1, v16, -v127
	v_mul_f32_e32 v126, 0xbe3c28d5, v17
	v_mul_f32_e32 v127, 0xbeb8f4ab, v17
	v_dual_mul_f32 v71, 0xbe3c28d5, v124 :: v_dual_add_f32 v70, v70, v74
	s_delay_alu instid0(VALU_DEP_4) | instskip(NEXT) | instid1(VALU_DEP_4)
	v_add_f32_e32 v72, v72, v75
	v_fmamk_f32 v73, v16, 0xbf7ba420, v126
	v_mul_f32_e32 v75, 0x3f7ee86f, v124
	s_delay_alu instid0(VALU_DEP_4) | instskip(NEXT) | instid1(VALU_DEP_1)
	v_fma_f32 v74, 0xbf7ba420, v128, -v71
	v_dual_add_f32 v73, v73, v116 :: v_dual_add_f32 v74, v74, v77
	v_fma_f32 v77, 0xbf7ba420, v16, -v126
	v_mul_f32_e32 v126, 0x3f7ee86f, v17
	v_mul_f32_e32 v17, 0xbf4c4adb, v17
	v_fmac_f32_e32 v71, 0xbf7ba420, v128
	v_fma_f32 v116, 0x3dbcf732, v128, -v75
	v_add_f32_e32 v77, v77, v79
	v_fmac_f32_e32 v75, 0x3dbcf732, v128
	s_delay_alu instid0(VALU_DEP_4) | instskip(NEXT) | instid1(VALU_DEP_4)
	v_dual_add_f32 v71, v71, v78 :: v_dual_mul_f32 v78, 0xbeb8f4ab, v124
	v_add_f32_e32 v79, v116, v117
	v_fma_f32 v117, 0x3dbcf732, v16, -v126
	s_delay_alu instid0(VALU_DEP_4) | instskip(NEXT) | instid1(VALU_DEP_4)
	v_dual_fmamk_f32 v116, v16, 0x3dbcf732, v126 :: v_dual_add_f32 v75, v75, v76
	v_fma_f32 v126, 0x3f6eb680, v128, -v78
	v_fmac_f32_e32 v78, 0x3f6eb680, v128
	s_delay_alu instid0(VALU_DEP_4) | instskip(SKIP_1) | instid1(VALU_DEP_3)
	v_add_f32_e32 v76, v117, v122
	v_fma_f32 v122, 0x3f6eb680, v16, -v127
	v_add_f32_e32 v78, v78, v121
	s_delay_alu instid0(VALU_DEP_2)
	v_dual_add_f32 v121, v122, v123 :: v_dual_sub_f32 v122, v12, v14
	v_add_f32_e32 v117, v126, v120
	v_dual_mul_f32 v120, 0xbf4c4adb, v124 :: v_dual_add_f32 v123, v13, v15
	v_dual_add_f32 v116, v116, v118 :: v_dual_sub_f32 v13, v13, v15
	v_fmamk_f32 v118, v16, 0x3f6eb680, v127
	v_fmamk_f32 v124, v16, 0xbf1a4643, v17
	v_mul_f32_e32 v15, 0xbf4c4adb, v122
	v_fma_f32 v16, 0xbf1a4643, v16, -v17
	s_delay_alu instid0(VALU_DEP_3) | instskip(NEXT) | instid1(VALU_DEP_3)
	v_dual_add_f32 v118, v118, v119 :: v_dual_add_f32 v21, v124, v21
	v_fma_f32 v17, 0xbf1a4643, v123, -v15
	s_delay_alu instid0(VALU_DEP_3) | instskip(SKIP_2) | instid1(VALU_DEP_4)
	v_dual_add_f32 v16, v16, v19 :: v_dual_mul_f32 v19, 0x3f763a35, v122
	v_fmac_f32_e32 v15, 0xbf1a4643, v123
	v_fma_f32 v119, 0xbf1a4643, v128, -v120
	v_dual_add_f32 v17, v17, v18 :: v_dual_fmac_f32 v120, 0xbf1a4643, v128
	s_delay_alu instid0(VALU_DEP_4) | instskip(NEXT) | instid1(VALU_DEP_4)
	v_fma_f32 v18, 0xbe8c1d8e, v123, -v19
	v_dual_add_f32 v15, v15, v69 :: v_dual_add_f32 v12, v12, v14
	v_fmac_f32_e32 v19, 0xbe8c1d8e, v123
	s_delay_alu instid0(VALU_DEP_3) | instskip(SKIP_2) | instid1(VALU_DEP_2)
	v_dual_add_f32 v59, v120, v59 :: v_dual_add_f32 v18, v18, v56
	v_mul_f32_e32 v14, 0xbf4c4adb, v13
	v_add_f32_e32 v119, v119, v125
	v_dual_add_f32 v19, v19, v23 :: v_dual_fmamk_f32 v120, v12, 0xbf1a4643, v14
	v_fma_f32 v14, 0xbf1a4643, v12, -v14
	s_delay_alu instid0(VALU_DEP_2) | instskip(SKIP_1) | instid1(VALU_DEP_3)
	v_add_f32_e32 v22, v120, v22
	v_mul_f32_e32 v120, 0x3f763a35, v13
	v_add_f32_e32 v14, v14, v20
	v_mul_f32_e32 v20, 0xbeb8f4ab, v122
	s_delay_alu instid0(VALU_DEP_3) | instskip(SKIP_2) | instid1(VALU_DEP_4)
	v_fmamk_f32 v56, v12, 0xbe8c1d8e, v120
	v_fma_f32 v69, 0xbe8c1d8e, v12, -v120
	v_mul_f32_e32 v120, 0xbeb8f4ab, v13
	v_fma_f32 v124, 0x3f6eb680, v123, -v20
	v_fmac_f32_e32 v20, 0x3f6eb680, v123
	s_delay_alu instid0(VALU_DEP_4) | instskip(NEXT) | instid1(VALU_DEP_4)
	v_dual_add_f32 v56, v56, v57 :: v_dual_add_f32 v23, v69, v58
	v_fmamk_f32 v57, v12, 0x3f6eb680, v120
	v_fma_f32 v69, 0x3f6eb680, v12, -v120
	v_add_f32_e32 v58, v124, v64
	v_mul_f32_e32 v64, 0xbf06c442, v122
	s_delay_alu instid0(VALU_DEP_3) | instskip(SKIP_2) | instid1(VALU_DEP_4)
	v_dual_add_f32 v20, v20, v65 :: v_dual_add_f32 v65, v69, v67
	v_mul_f32_e32 v67, 0x3f7ee86f, v122
	v_dual_add_f32 v57, v57, v66 :: v_dual_mul_f32 v66, 0xbf06c442, v13
	v_fma_f32 v120, 0xbf59a7d5, v123, -v64
	v_fmac_f32_e32 v64, 0xbf59a7d5, v123
	s_delay_alu instid0(VALU_DEP_3) | instskip(SKIP_1) | instid1(VALU_DEP_4)
	v_fmamk_f32 v69, v12, 0xbf59a7d5, v66
	v_fma_f32 v66, 0xbf59a7d5, v12, -v66
	v_add_f32_e32 v68, v120, v68
	v_fma_f32 v120, 0x3dbcf732, v123, -v67
	v_add_f32_e32 v63, v64, v63
	v_fmac_f32_e32 v67, 0x3dbcf732, v123
	v_dual_add_f32 v69, v69, v70 :: v_dual_mul_f32 v70, 0x3f7ee86f, v13
	v_add_f32_e32 v64, v66, v72
	v_mul_f32_e32 v72, 0xbf2c7751, v122
	v_add_f32_e32 v66, v120, v74
	v_mul_f32_e32 v120, 0xbf2c7751, v13
	v_fmamk_f32 v74, v12, 0x3dbcf732, v70
	v_fma_f32 v70, 0x3dbcf732, v12, -v70
	v_fma_f32 v124, 0x3f3d2fb0, v123, -v72
	v_fmac_f32_e32 v72, 0x3f3d2fb0, v123
	v_add_f32_e32 v67, v67, v71
	v_add_f32_e32 v73, v74, v73
	;; [unrolled: 1-line block ×3, first 2 shown]
	v_dual_add_f32 v74, v124, v79 :: v_dual_mul_f32 v77, 0xbe3c28d5, v122
	v_fma_f32 v79, 0x3f3d2fb0, v12, -v120
	v_fmamk_f32 v71, v12, 0x3f3d2fb0, v120
	v_add_f32_e32 v72, v72, v75
	s_delay_alu instid0(VALU_DEP_4) | instskip(NEXT) | instid1(VALU_DEP_4)
	v_fma_f32 v120, 0xbf7ba420, v123, -v77
	v_dual_add_f32 v75, v79, v76 :: v_dual_mul_f32 v76, 0x3f65296c, v122
	v_fmac_f32_e32 v77, 0xbf7ba420, v123
	v_add_f32_e32 v71, v71, v116
	s_delay_alu instid0(VALU_DEP_4) | instskip(NEXT) | instid1(VALU_DEP_4)
	v_add_f32_e32 v117, v120, v117
	v_fma_f32 v120, 0x3ee437d1, v123, -v76
	s_delay_alu instid0(VALU_DEP_4) | instskip(SKIP_3) | instid1(VALU_DEP_3)
	v_dual_fmac_f32 v76, 0x3ee437d1, v123 :: v_dual_add_f32 v77, v77, v78
	v_add_co_u32 v123, s0, s8, v135
	s_wait_alu 0xf1ff
	v_add_co_ci_u32_e64 v124, null, s9, 0, s0
	v_dual_add_f32 v59, v76, v59 :: v_dual_mul_f32 v116, 0xbe3c28d5, v13
	v_mul_f32_e32 v13, 0x3f65296c, v13
	s_delay_alu instid0(VALU_DEP_2) | instskip(SKIP_1) | instid1(VALU_DEP_2)
	v_fmamk_f32 v79, v12, 0xbf7ba420, v116
	v_fma_f32 v116, 0xbf7ba420, v12, -v116
	v_add_f32_e32 v79, v79, v118
	v_sub_f32_e32 v118, v8, v10
	s_delay_alu instid0(VALU_DEP_3)
	v_add_f32_e32 v78, v116, v121
	v_add_f32_e32 v116, v120, v119
	v_dual_fmamk_f32 v119, v12, 0x3ee437d1, v13 :: v_dual_sub_f32 v120, v9, v11
	v_add_f32_e32 v9, v9, v11
	v_mul_f32_e32 v11, 0xbf06c442, v118
	v_fma_f32 v12, 0x3ee437d1, v12, -v13
	s_delay_alu instid0(VALU_DEP_4) | instskip(SKIP_1) | instid1(VALU_DEP_4)
	v_dual_add_f32 v13, v119, v21 :: v_dual_mul_f32 v76, 0x3f65296c, v118
	v_mul_f32_e32 v119, 0xbf7ee86f, v120
	v_fma_f32 v21, 0xbf59a7d5, v9, -v11
	s_delay_alu instid0(VALU_DEP_4) | instskip(NEXT) | instid1(VALU_DEP_2)
	v_dual_fmac_f32 v11, 0xbf59a7d5, v9 :: v_dual_add_f32 v12, v12, v16
	v_add_f32_e32 v17, v21, v17
	v_fma_f32 v21, 0x3ee437d1, v9, -v76
	s_delay_alu instid0(VALU_DEP_3) | instskip(SKIP_1) | instid1(VALU_DEP_3)
	v_dual_fmac_f32 v76, 0x3ee437d1, v9 :: v_dual_add_f32 v11, v11, v15
	v_add_f32_e32 v8, v8, v10
	v_add_f32_e32 v15, v21, v18
	s_delay_alu instid0(VALU_DEP_3) | instskip(SKIP_1) | instid1(VALU_DEP_2)
	v_dual_add_f32 v19, v76, v19 :: v_dual_mul_f32 v10, 0xbf06c442, v120
	v_mul_f32_e32 v76, 0x3f4c4adb, v120
	v_fmamk_f32 v16, v8, 0xbf59a7d5, v10
	v_fma_f32 v10, 0xbf59a7d5, v8, -v10
	s_delay_alu instid0(VALU_DEP_2) | instskip(SKIP_1) | instid1(VALU_DEP_1)
	v_add_f32_e32 v16, v16, v22
	v_mul_f32_e32 v22, 0x3f65296c, v120
	v_fma_f32 v21, 0x3ee437d1, v8, -v22
	s_delay_alu instid0(VALU_DEP_1) | instskip(SKIP_1) | instid1(VALU_DEP_1)
	v_dual_fmamk_f32 v18, v8, 0x3ee437d1, v22 :: v_dual_add_f32 v21, v21, v23
	v_dual_fmamk_f32 v23, v8, 0x3dbcf732, v119 :: v_dual_add_f32 v10, v10, v14
	v_dual_mul_f32 v14, 0xbf7ee86f, v118 :: v_dual_add_f32 v23, v23, v57
	s_delay_alu instid0(VALU_DEP_1) | instskip(SKIP_1) | instid1(VALU_DEP_2)
	v_fma_f32 v22, 0x3dbcf732, v9, -v14
	v_fmac_f32_e32 v14, 0x3dbcf732, v9
	v_add_f32_e32 v22, v22, v58
	v_fma_f32 v58, 0x3dbcf732, v8, -v119
	s_delay_alu instid0(VALU_DEP_3) | instskip(SKIP_2) | instid1(VALU_DEP_4)
	v_add_f32_e32 v14, v14, v20
	v_mul_f32_e32 v119, 0xbe3c28d5, v120
	v_add_f32_e32 v18, v18, v56
	v_add_f32_e32 v20, v58, v65
	v_fmamk_f32 v58, v8, 0xbf1a4643, v76
	s_delay_alu instid0(VALU_DEP_1) | instskip(NEXT) | instid1(VALU_DEP_1)
	v_dual_mul_f32 v65, 0xbeb8f4ab, v118 :: v_dual_add_f32 v58, v58, v69
	v_fma_f32 v69, 0x3f6eb680, v9, -v65
	s_delay_alu instid0(VALU_DEP_1) | instskip(NEXT) | instid1(VALU_DEP_1)
	v_dual_fmac_f32 v65, 0x3f6eb680, v9 :: v_dual_add_f32 v66, v69, v66
	v_dual_add_f32 v65, v65, v67 :: v_dual_mul_f32 v56, 0x3f4c4adb, v118
	s_delay_alu instid0(VALU_DEP_1) | instskip(NEXT) | instid1(VALU_DEP_1)
	v_fma_f32 v57, 0xbf1a4643, v9, -v56
	v_dual_fmac_f32 v56, 0xbf1a4643, v9 :: v_dual_add_f32 v57, v57, v68
	v_fma_f32 v68, 0xbf1a4643, v8, -v76
	v_mul_f32_e32 v76, 0xbeb8f4ab, v120
	s_delay_alu instid0(VALU_DEP_3) | instskip(NEXT) | instid1(VALU_DEP_3)
	v_add_f32_e32 v56, v56, v63
	v_dual_add_f32 v63, v68, v64 :: v_dual_mul_f32 v64, 0xbe3c28d5, v118
	s_delay_alu instid0(VALU_DEP_3) | instskip(SKIP_1) | instid1(VALU_DEP_3)
	v_fmamk_f32 v68, v8, 0x3f6eb680, v76
	v_fma_f32 v69, 0x3f6eb680, v8, -v76
	v_fma_f32 v76, 0xbf7ba420, v9, -v64
	s_delay_alu instid0(VALU_DEP_2) | instskip(SKIP_2) | instid1(VALU_DEP_4)
	v_dual_add_f32 v68, v68, v73 :: v_dual_add_f32 v67, v69, v70
	v_fmamk_f32 v70, v8, 0xbf7ba420, v119
	v_mul_f32_e32 v73, 0x3f2c7751, v118
	v_dual_add_f32 v69, v76, v74 :: v_dual_fmac_f32 v64, 0xbf7ba420, v9
	v_fma_f32 v74, 0xbf7ba420, v8, -v119
	v_mul_f32_e32 v76, 0x3f2c7751, v120
	v_add_f32_e32 v70, v70, v71
	v_fma_f32 v71, 0x3f3d2fb0, v9, -v73
	v_add_f32_e32 v64, v64, v72
	v_add_f32_e32 v72, v74, v75
	v_fmamk_f32 v74, v8, 0x3f3d2fb0, v76
	v_mul_f32_e32 v75, 0xbf763a35, v118
	v_fmac_f32_e32 v73, 0x3f3d2fb0, v9
	v_fma_f32 v76, 0x3f3d2fb0, v8, -v76
	v_sub_f32_e32 v118, v5, v7
	v_add_f32_e32 v74, v74, v79
	v_fma_f32 v79, 0xbe8c1d8e, v9, -v75
	v_add_f32_e32 v73, v73, v77
	v_sub_f32_e32 v77, v4, v6
	v_add_f32_e32 v71, v71, v117
	v_dual_mul_f32 v117, 0xbf763a35, v120 :: v_dual_add_f32 v76, v76, v78
	v_fmac_f32_e32 v75, 0xbe8c1d8e, v9
	v_dual_mul_f32 v9, 0x3eb8f4ab, v118 :: v_dual_add_f32 v78, v79, v116
	v_dual_add_f32 v116, v5, v7 :: v_dual_mul_f32 v7, 0xbe3c28d5, v77
	s_delay_alu instid0(VALU_DEP_4)
	v_fmamk_f32 v79, v8, 0xbe8c1d8e, v117
	v_fma_f32 v5, 0xbe8c1d8e, v8, -v117
	v_add_f32_e32 v117, v4, v6
	v_mul_f32_e32 v6, 0xbe3c28d5, v118
	v_fma_f32 v4, 0xbf7ba420, v116, -v7
	v_fmac_f32_e32 v7, 0xbf7ba420, v116
	v_dual_add_f32 v59, v75, v59 :: v_dual_mul_f32 v8, 0x3eb8f4ab, v77
	v_add_f32_e32 v79, v79, v13
	v_mul_f32_e32 v13, 0x3f2c7751, v77
	s_delay_alu instid0(VALU_DEP_4)
	v_add_f32_e32 v125, v7, v11
	v_fmamk_f32 v7, v117, 0x3f6eb680, v9
	v_add_f32_e32 v75, v5, v12
	v_fmamk_f32 v5, v117, 0xbf7ba420, v6
	v_fma_f32 v6, 0xbf7ba420, v117, -v6
	v_fma_f32 v12, 0x3f6eb680, v116, -v8
	v_fmac_f32_e32 v8, 0x3f6eb680, v116
	v_fma_f32 v9, 0x3f6eb680, v117, -v9
	v_add_f32_e32 v4, v4, v17
	v_add_f32_e32 v126, v6, v10
	v_mul_f32_e32 v10, 0xbf06c442, v77
	v_add_f32_e32 v6, v12, v15
	v_mul_f32_e32 v12, 0xbf06c442, v118
	v_fma_f32 v15, 0x3f3d2fb0, v116, -v13
	v_add_f32_e32 v127, v8, v19
	v_fma_f32 v11, 0xbf59a7d5, v116, -v10
	v_fmac_f32_e32 v10, 0xbf59a7d5, v116
	v_add_f32_e32 v128, v9, v21
	v_fmamk_f32 v9, v117, 0xbf59a7d5, v12
	s_delay_alu instid0(VALU_DEP_4)
	v_dual_fmac_f32 v13, 0x3f3d2fb0, v116 :: v_dual_add_f32 v8, v11, v22
	v_fma_f32 v11, 0xbf59a7d5, v117, -v12
	v_mul_f32_e32 v12, 0x3f2c7751, v118
	v_mul_f32_e32 v17, 0x3f65296c, v77
	v_dual_add_f32 v129, v10, v14 :: v_dual_add_f32 v10, v15, v57
	v_dual_mul_f32 v14, 0xbf4c4adb, v77 :: v_dual_mul_f32 v15, 0xbf4c4adb, v118
	v_add_f32_e32 v5, v5, v16
	v_add_f32_e32 v7, v7, v18
	v_mul_f32_e32 v18, 0x3f65296c, v118
	s_delay_alu instid0(VALU_DEP_4)
	v_fma_f32 v16, 0xbf1a4643, v116, -v14
	v_mul_f32_e32 v19, 0xbf763a35, v118
	v_add_f32_e32 v131, v13, v56
	v_dual_fmamk_f32 v13, v117, 0xbf1a4643, v15 :: v_dual_add_f32 v130, v11, v20
	v_fmamk_f32 v11, v117, 0x3f3d2fb0, v12
	v_fma_f32 v12, 0x3f3d2fb0, v117, -v12
	v_fma_f32 v15, 0xbf1a4643, v117, -v15
	v_mul_f32_e32 v20, 0xbf763a35, v77
	v_fmac_f32_e32 v14, 0xbf1a4643, v116
	v_fmamk_f32 v22, v117, 0xbe8c1d8e, v19
	v_add_f32_e32 v132, v12, v63
	v_add_f32_e32 v12, v16, v66
	v_fma_f32 v16, 0x3ee437d1, v116, -v17
	v_dual_add_f32 v122, v15, v67 :: v_dual_fmamk_f32 v15, v117, 0x3ee437d1, v18
	v_fmac_f32_e32 v17, 0x3ee437d1, v116
	v_fma_f32 v18, 0x3ee437d1, v117, -v18
	v_fma_f32 v21, 0xbe8c1d8e, v116, -v20
	v_add_f32_e32 v121, v14, v65
	v_add_f32_e32 v14, v16, v69
	;; [unrolled: 1-line block ×3, first 2 shown]
	s_delay_alu instid0(VALU_DEP_4) | instskip(SKIP_4) | instid1(VALU_DEP_3)
	v_dual_add_f32 v17, v18, v72 :: v_dual_add_f32 v18, v21, v71
	v_fma_f32 v21, 0xbe8c1d8e, v117, -v19
	v_dual_add_f32 v19, v22, v74 :: v_dual_mul_f32 v56, 0x3f7ee86f, v77
	v_dual_mul_f32 v22, 0x3f7ee86f, v118 :: v_dual_add_f32 v9, v9, v23
	v_dual_add_f32 v11, v11, v58 :: v_dual_fmac_f32 v20, 0xbe8c1d8e, v116
	v_fma_f32 v23, 0x3dbcf732, v116, -v56
	s_delay_alu instid0(VALU_DEP_3)
	v_fmamk_f32 v57, v117, 0x3dbcf732, v22
	v_fmac_f32_e32 v56, 0x3dbcf732, v116
	v_fma_f32 v58, 0x3dbcf732, v117, -v22
	v_add_f32_e32 v13, v13, v68
	v_add_f32_e32 v15, v15, v70
	v_dual_add_f32 v22, v23, v78 :: v_dual_add_f32 v23, v57, v79
	v_add_f32_e32 v56, v56, v59
	v_dual_add_f32 v57, v58, v75 :: v_dual_add_f32 v20, v20, v73
	v_add_f32_e32 v21, v21, v76
	ds_store_2addr_b64 v137, v[0:1], v[4:5] offset1:17
	ds_store_2addr_b64 v137, v[6:7], v[8:9] offset0:34 offset1:51
	ds_store_2addr_b64 v137, v[10:11], v[12:13] offset0:68 offset1:85
	;; [unrolled: 1-line block ×7, first 2 shown]
	ds_store_b64 v137, v[125:126] offset:2176
	v_add_nc_u32_e32 v0, 0x2000, v135
	v_add_nc_u32_e32 v1, 0x2c00, v135
	global_wb scope:SCOPE_SE
	s_wait_dscnt 0x0
	s_barrier_signal -1
	s_barrier_wait -1
	global_inv scope:SCOPE_SE
	ds_load_2addr_b64 v[56:59], v135 offset1:102
	ds_load_2addr_b64 v[76:79], v60 offset0:33 offset1:135
	ds_load_2addr_b64 v[72:75], v61 offset0:66 offset1:168
	;; [unrolled: 1-line block ×5, first 2 shown]
	s_and_saveexec_b32 s0, vcc_lo
	s_cbranch_execz .LBB0_3
; %bb.2:
	ds_load_b64 v[121:122], v135 offset:1632
	ds_load_b64 v[131:132], v135 offset:3944
	;; [unrolled: 1-line block ×6, first 2 shown]
.LBB0_3:
	s_wait_alu 0xfffe
	s_or_b32 exec_lo, exec_lo, s0
	scratch_load_b32 v2, off, off           ; 4-byte Folded Reload
	s_wait_loadcnt 0x0
	v_mad_co_u64_u32 v[0:1], null, v2, 40, s[10:11]
	s_clause 0x5
	global_load_b128 v[20:23], v[0:1], off offset:2176
	global_load_b128 v[12:15], v[0:1], off offset:2192
	global_load_b64 v[119:120], v[0:1], off offset:2208
	global_load_b128 v[16:19], v[0:1], off offset:6256
	global_load_b128 v[8:11], v[0:1], off offset:6272
	global_load_b64 v[117:118], v[0:1], off offset:6288
	v_add_nc_u32_e32 v0, 0xcc, v2
	s_wait_loadcnt_dscnt 0x504
	v_dual_mul_f32 v140, v76, v21 :: v_dual_add_nc_u32 v1, 0xffffffab, v2
	v_mul_f32_e32 v139, v77, v21
	s_wait_loadcnt 0x2
	s_delay_alu instid0(VALU_DEP_2)
	v_dual_cndmask_b32 v0, v1, v0 :: v_dual_mul_f32 v149, v79, v17
	s_wait_dscnt 0x2
	v_dual_mul_f32 v142, v72, v23 :: v_dual_mul_f32 v143, v69, v13
	s_wait_dscnt 0x0
	v_dual_mul_f32 v146, v64, v15 :: v_dual_mul_f32 v147, v61, v120
	v_mul_i32_i24_e32 v1, 40, v0
	v_mul_hi_i32_i24_e32 v0, 40, v0
	s_wait_loadcnt 0x1
	v_dual_mul_f32 v152, v74, v19 :: v_dual_mul_f32 v153, v71, v9
	s_wait_loadcnt 0x0
	v_dual_mul_f32 v156, v66, v11 :: v_dual_mul_f32 v157, v63, v118
	v_add_co_u32 v115, s0, s10, v1
	s_wait_alu 0xf1ff
	v_add_co_ci_u32_e64 v116, s0, s11, v0, s0
	s_clause 0x2
	global_load_b128 v[4:7], v[115:116], off offset:2176
	global_load_b128 v[0:3], v[115:116], off offset:2192
	global_load_b64 v[115:116], v[115:116], off offset:2208
	v_dual_mul_f32 v141, v73, v23 :: v_dual_mul_f32 v144, v68, v13
	v_dual_mul_f32 v145, v65, v15 :: v_dual_mul_f32 v148, v60, v120
	;; [unrolled: 1-line block ×3, first 2 shown]
	v_fma_f32 v68, v68, v12, -v143
	v_fma_f32 v60, v60, v119, -v147
	v_fmac_f32_e32 v152, v75, v18
	v_fmac_f32_e32 v156, v67, v10
	v_dual_mul_f32 v154, v70, v9 :: v_dual_mul_f32 v155, v67, v11
	v_fma_f32 v72, v72, v22, -v141
	v_mul_f32_e32 v158, v62, v118
	v_fmac_f32_e32 v142, v73, v22
	v_dual_fmac_f32 v148, v61, v119 :: v_dual_sub_f32 v147, v152, v156
	v_fmac_f32_e32 v146, v65, v14
	v_fmac_f32_e32 v150, v79, v16
	v_fma_f32 v67, v62, v117, -v157
	v_add_f32_e32 v79, v68, v60
	v_add_f32_e32 v75, v57, v142
	v_fmac_f32_e32 v144, v69, v12
	v_fma_f32 v69, v64, v14, -v145
	v_fma_f32 v64, v70, v8, -v153
	;; [unrolled: 1-line block ×3, first 2 shown]
	v_fmac_f32_e32 v140, v77, v20
	v_fma_f32 v139, v78, v16, -v149
	v_add_f32_e32 v73, v72, v69
	v_fma_f32 v61, v74, v18, -v151
	v_fma_f32 v70, v66, v10, -v155
	v_fmac_f32_e32 v154, v71, v8
	v_add_f32_e32 v71, v56, v72
	v_add_f32_e32 v77, v142, v146
	;; [unrolled: 1-line block ×4, first 2 shown]
	v_dual_add_f32 v153, v64, v67 :: v_dual_fmac_f32 v158, v63, v117
	v_add_f32_e32 v151, v152, v156
	v_sub_f32_e32 v72, v72, v69
	v_add_f32_e32 v78, v76, v68
	v_sub_f32_e32 v141, v144, v148
	v_sub_f32_e32 v155, v154, v158
	v_dual_sub_f32 v74, v142, v146 :: v_dual_add_f32 v149, v59, v152
	v_dual_add_f32 v142, v140, v144 :: v_dual_add_f32 v157, v150, v154
	v_sub_f32_e32 v144, v68, v60
	v_dual_add_f32 v68, v58, v61 :: v_dual_sub_f32 v159, v64, v67
	v_dual_sub_f32 v152, v61, v70 :: v_dual_add_f32 v61, v139, v64
	v_add_f32_e32 v154, v154, v158
	v_fma_f32 v165, -0.5, v73, v56
	v_fmac_f32_e32 v76, -0.5, v79
	v_dual_fmac_f32 v140, -0.5, v143 :: v_dual_fmac_f32 v139, -0.5, v153
	v_fma_f32 v166, -0.5, v145, v58
	v_add_f32_e32 v69, v71, v69
	v_add_f32_e32 v73, v78, v60
	;; [unrolled: 1-line block ×3, first 2 shown]
	v_fma_f32 v146, -0.5, v77, v57
	v_add_f32_e32 v75, v142, v148
	v_add_f32_e32 v77, v149, v156
	v_dual_fmac_f32 v59, -0.5, v151 :: v_dual_add_f32 v60, v69, v73
	s_wait_loadcnt 0x2
	v_dual_fmamk_f32 v149, v147, 0x3f5db3d7, v166 :: v_dual_mul_f32 v66, v129, v7
	s_wait_loadcnt 0x1
	v_mul_f32_e32 v162, v128, v1
	v_dual_mul_f32 v65, v127, v1 :: v_dual_mul_f32 v62, v125, v3
	s_wait_loadcnt 0x0
	v_mul_f32_e32 v164, v134, v116
	v_dual_mul_f32 v63, v133, v116 :: v_dual_mul_f32 v160, v132, v5
	v_dual_mul_f32 v163, v126, v3 :: v_dual_mul_f32 v64, v131, v5
	v_dual_mul_f32 v161, v130, v7 :: v_dual_add_f32 v70, v68, v70
	s_delay_alu instid0(VALU_DEP_3)
	v_fmac_f32_e32 v63, v134, v115
	v_dual_add_f32 v78, v61, v67 :: v_dual_fmac_f32 v65, v128, v0
	v_fmac_f32_e32 v150, -0.5, v154
	v_dual_fmac_f32 v66, v130, v6 :: v_dual_add_f32 v61, v71, v75
	v_fma_f32 v68, v127, v0, -v162
	v_dual_fmac_f32 v62, v126, v2 :: v_dual_sub_f32 v127, v71, v75
	v_fma_f32 v57, v133, v115, -v164
	v_dual_add_f32 v79, v157, v158 :: v_dual_fmac_f32 v64, v132, v4
	v_fma_f32 v58, v131, v4, -v160
	v_fma_f32 v67, v129, v6, -v161
	v_fma_f32 v56, v125, v2, -v163
	v_fmamk_f32 v125, v74, 0x3f5db3d7, v165
	v_dual_fmac_f32 v165, 0xbf5db3d7, v74 :: v_dual_fmamk_f32 v134, v72, 0xbf5db3d7, v146
	v_fmac_f32_e32 v146, 0x3f5db3d7, v72
	v_fmamk_f32 v72, v141, 0x3f5db3d7, v76
	v_dual_fmac_f32 v76, 0xbf5db3d7, v141 :: v_dual_fmamk_f32 v153, v152, 0xbf5db3d7, v59
	v_fmamk_f32 v132, v144, 0xbf5db3d7, v140
	v_dual_fmac_f32 v140, 0x3f5db3d7, v144 :: v_dual_add_f32 v129, v77, v79
	v_dual_sub_f32 v126, v69, v73 :: v_dual_fmamk_f32 v133, v159, 0xbf5db3d7, v150
	v_fmamk_f32 v69, v155, 0x3f5db3d7, v139
	v_fmac_f32_e32 v139, 0xbf5db3d7, v155
	v_dual_fmac_f32 v150, 0x3f5db3d7, v159 :: v_dual_add_f32 v71, v66, v62
	v_dual_add_f32 v74, v68, v57 :: v_dual_add_f32 v141, v65, v63
	v_dual_fmac_f32 v59, 0x3f5db3d7, v152 :: v_dual_add_f32 v128, v70, v78
	v_dual_sub_f32 v131, v77, v79 :: v_dual_sub_f32 v130, v70, v78
	v_sub_f32_e32 v75, v67, v56
	v_dual_add_f32 v70, v67, v56 :: v_dual_sub_f32 v77, v65, v63
	v_dual_sub_f32 v78, v68, v57 :: v_dual_mul_f32 v143, -0.5, v76
	v_dual_mul_f32 v142, 0x3f5db3d7, v132 :: v_dual_mul_f32 v151, 0x3f5db3d7, v133
	v_dual_mul_f32 v144, 0xbf5db3d7, v72 :: v_dual_mul_f32 v155, -0.5, v150
	v_dual_mul_f32 v145, -0.5, v140 :: v_dual_mul_f32 v152, -0.5, v139
	v_mul_f32_e32 v154, 0xbf5db3d7, v69
	v_fma_f32 v71, -0.5, v71, v122
	v_fma_f32 v79, -0.5, v74, v58
	s_delay_alu instid0(VALU_DEP_4)
	v_fmac_f32_e32 v145, 0xbf5db3d7, v76
	v_fma_f32 v74, -0.5, v141, v64
	v_dual_fmac_f32 v166, 0xbf5db3d7, v147 :: v_dual_sub_f32 v73, v66, v62
	v_fma_f32 v70, -0.5, v70, v121
	v_dual_fmac_f32 v142, 0.5, v72 :: v_dual_fmac_f32 v151, 0.5, v69
	v_dual_fmac_f32 v143, 0x3f5db3d7, v140 :: v_dual_fmac_f32 v152, 0x3f5db3d7, v150
	v_dual_fmac_f32 v144, 0.5, v132 :: v_dual_fmac_f32 v155, 0xbf5db3d7, v139
	s_delay_alu instid0(VALU_DEP_2) | instskip(SKIP_1) | instid1(VALU_DEP_3)
	v_dual_fmac_f32 v154, 0.5, v133 :: v_dual_add_f32 v139, v165, v143
	v_dual_fmamk_f32 v72, v75, 0x3f5db3d7, v71 :: v_dual_fmamk_f32 v157, v78, 0x3f5db3d7, v74
	v_dual_fmamk_f32 v156, v77, 0xbf5db3d7, v79 :: v_dual_add_f32 v133, v134, v144
	v_dual_fmamk_f32 v69, v73, 0xbf5db3d7, v70 :: v_dual_add_f32 v140, v146, v145
	v_dual_add_f32 v132, v125, v142 :: v_dual_add_f32 v147, v166, v152
	v_dual_sub_f32 v141, v125, v142 :: v_dual_sub_f32 v142, v134, v144
	v_dual_sub_f32 v143, v165, v143 :: v_dual_sub_f32 v144, v146, v145
	v_dual_add_f32 v145, v149, v151 :: v_dual_mul_f32 v76, -0.5, v156
	v_dual_add_f32 v146, v153, v154 :: v_dual_mul_f32 v125, -0.5, v157
	v_sub_f32_e32 v149, v149, v151
	v_sub_f32_e32 v150, v153, v154
	s_delay_alu instid0(VALU_DEP_4)
	v_fmac_f32_e32 v76, 0x3f5db3d7, v157
	v_dual_add_f32 v148, v59, v155 :: v_dual_sub_f32 v151, v166, v152
	v_dual_fmac_f32 v125, 0xbf5db3d7, v156 :: v_dual_sub_f32 v152, v59, v155
	ds_store_b64 v135, v[132:133] offset:2312
	ds_store_b64 v135, v[139:140] offset:4624
	;; [unrolled: 1-line block ×5, first 2 shown]
	ds_store_2addr_b64 v135, v[60:61], v[128:129] offset1:102
	v_dual_sub_f32 v60, v69, v76 :: v_dual_sub_f32 v61, v72, v125
	ds_store_b64 v135, v[145:146] offset:3128
	ds_store_b64 v135, v[147:148] offset:5440
	ds_store_b64 v135, v[130:131] offset:7752
	ds_store_b64 v135, v[149:150] offset:10064
	ds_store_b64 v135, v[151:152] offset:12376
	s_and_saveexec_b32 s0, vcc_lo
	s_cbranch_execz .LBB0_5
; %bb.4:
	v_dual_mul_f32 v59, 0x3f5db3d7, v77 :: v_dual_add_f32 v66, v122, v66
	v_dual_mul_f32 v75, 0x3f5db3d7, v75 :: v_dual_add_f32 v58, v58, v68
	v_mul_f32_e32 v77, 0x3f5db3d7, v78
	s_delay_alu instid0(VALU_DEP_3) | instskip(NEXT) | instid1(VALU_DEP_3)
	v_dual_mul_f32 v73, 0x3f5db3d7, v73 :: v_dual_add_f32 v78, v59, v79
	v_dual_add_f32 v59, v64, v65 :: v_dual_sub_f32 v68, v71, v75
	s_delay_alu instid0(VALU_DEP_3) | instskip(NEXT) | instid1(VALU_DEP_3)
	v_dual_add_f32 v64, v121, v67 :: v_dual_sub_f32 v65, v74, v77
	v_mul_f32_e32 v67, 0x3f5db3d7, v78
	v_add_f32_e32 v62, v66, v62
	s_delay_alu instid0(VALU_DEP_4) | instskip(NEXT) | instid1(VALU_DEP_4)
	v_add_f32_e32 v66, v59, v63
	v_dual_add_f32 v56, v64, v56 :: v_dual_mul_f32 v71, 0x3f5db3d7, v65
	s_delay_alu instid0(VALU_DEP_4)
	v_fma_f32 v67, v65, 0.5, -v67
	v_add_f32_e32 v58, v58, v57
	v_add_f32_e32 v70, v73, v70
	v_sub_f32_e32 v57, v62, v66
	v_fmac_f32_e32 v71, 0.5, v78
	v_sub_f32_e32 v59, v68, v67
	v_add_f32_e32 v65, v68, v67
	v_dual_add_f32 v67, v62, v66 :: v_dual_add_f32 v62, v69, v76
	v_add_f32_e32 v66, v56, v58
	v_dual_add_f32 v63, v72, v125 :: v_dual_add_f32 v64, v70, v71
	v_sub_f32_e32 v56, v56, v58
	v_sub_f32_e32 v58, v70, v71
	ds_store_b64 v135, v[66:67] offset:1632
	ds_store_b64 v135, v[64:65] offset:3944
	;; [unrolled: 1-line block ×6, first 2 shown]
.LBB0_5:
	s_wait_alu 0xfffe
	s_or_b32 exec_lo, exec_lo, s0
	global_wb scope:SCOPE_SE
	s_wait_dscnt 0x0
	s_barrier_signal -1
	s_barrier_wait -1
	global_inv scope:SCOPE_SE
	global_load_b64 v[62:63], v[123:124], off offset:13872
	s_add_nc_u64 s[0:1], s[8:9], 0x3630
	s_clause 0x2
	global_load_b64 v[64:65], v135, s[0:1] offset:816
	global_load_b64 v[68:69], v135, s[0:1] offset:2448
	;; [unrolled: 1-line block ×3, first 2 shown]
	ds_load_2addr_b64 v[56:59], v135 offset1:102
	s_wait_loadcnt_dscnt 0x300
	v_mul_f32_e32 v66, v57, v63
	v_mul_f32_e32 v67, v56, v63
	s_delay_alu instid0(VALU_DEP_1) | instskip(SKIP_4) | instid1(VALU_DEP_3)
	v_fmac_f32_e32 v67, v57, v62
	s_wait_loadcnt 0x2
	v_mul_f32_e32 v57, v58, v65
	v_fma_f32 v66, v56, v62, -v66
	v_mul_f32_e32 v56, v59, v65
	v_fmac_f32_e32 v57, v59, v64
	s_delay_alu instid0(VALU_DEP_2)
	v_fma_f32 v56, v58, v64, -v56
	ds_store_2addr_b64 v135, v[66:67], v[56:57] offset1:102
	s_clause 0x2
	global_load_b64 v[62:63], v135, s[0:1] offset:1632
	global_load_b64 v[65:66], v135, s[0:1] offset:3264
	;; [unrolled: 1-line block ×3, first 2 shown]
	v_add_nc_u32_e32 v67, 0x400, v135
	ds_load_b64 v[74:75], v135 offset:13056
	ds_load_2addr_b64 v[56:59], v67 offset0:76 offset1:178
	s_wait_loadcnt_dscnt 0x200
	v_mul_f32_e32 v64, v57, v63
	v_mul_f32_e32 v77, v56, v63
	;; [unrolled: 1-line block ×3, first 2 shown]
	s_delay_alu instid0(VALU_DEP_3) | instskip(SKIP_1) | instid1(VALU_DEP_4)
	v_fma_f32 v76, v56, v62, -v64
	v_mul_f32_e32 v56, v59, v69
	v_dual_fmac_f32 v77, v57, v62 :: v_dual_add_nc_u32 v64, 0x800, v135
	s_delay_alu instid0(VALU_DEP_4) | instskip(NEXT) | instid1(VALU_DEP_3)
	v_fmac_f32_e32 v63, v59, v68
	v_fma_f32 v62, v58, v68, -v56
	ds_load_2addr_b64 v[56:59], v64 offset0:152 offset1:254
	s_wait_dscnt 0x0
	v_mul_f32_e32 v122, v58, v71
	s_wait_loadcnt 0x1
	v_mul_f32_e32 v68, v57, v66
	v_mul_f32_e32 v79, v56, v66
	s_delay_alu instid0(VALU_DEP_3) | instskip(NEXT) | instid1(VALU_DEP_3)
	v_fmac_f32_e32 v122, v59, v70
	v_fma_f32 v78, v56, v65, -v68
	s_delay_alu instid0(VALU_DEP_3) | instskip(SKIP_1) | instid1(VALU_DEP_2)
	v_dual_fmac_f32 v79, v57, v65 :: v_dual_mul_f32 v56, v59, v71
	v_add_nc_u32_e32 v65, 0x1000, v135
	v_fma_f32 v121, v58, v70, -v56
	ds_load_2addr_b64 v[56:59], v65 offset0:100 offset1:202
	s_wait_loadcnt_dscnt 0x0
	v_mul_f32_e32 v124, v56, v73
	v_mul_f32_e32 v66, v57, v73
	s_delay_alu instid0(VALU_DEP_2) | instskip(NEXT) | instid1(VALU_DEP_2)
	v_fmac_f32_e32 v124, v57, v72
	v_fma_f32 v123, v56, v72, -v66
	s_clause 0x3
	global_load_b64 v[56:57], v135, s[0:1] offset:5712
	global_load_b64 v[68:69], v135, s[0:1] offset:6528
	;; [unrolled: 1-line block ×4, first 2 shown]
	s_wait_loadcnt 0x3
	v_mul_f32_e32 v66, v59, v57
	v_mul_f32_e32 v126, v58, v57
	s_delay_alu instid0(VALU_DEP_2) | instskip(SKIP_1) | instid1(VALU_DEP_3)
	v_fma_f32 v125, v58, v56, -v66
	v_add_nc_u32_e32 v66, 0x1800, v135
	v_fmac_f32_e32 v126, v59, v56
	ds_load_2addr_b64 v[56:59], v66 offset0:48 offset1:150
	s_wait_loadcnt_dscnt 0x200
	v_mul_f32_e32 v127, v57, v69
	v_mul_f32_e32 v128, v56, v69
	s_wait_loadcnt 0x1
	v_mul_f32_e32 v130, v58, v71
	s_delay_alu instid0(VALU_DEP_3) | instskip(NEXT) | instid1(VALU_DEP_3)
	v_fma_f32 v127, v56, v68, -v127
	v_fmac_f32_e32 v128, v57, v68
	v_mul_f32_e32 v56, v59, v71
	v_add_nc_u32_e32 v68, 0x1c00, v135
	v_fmac_f32_e32 v130, v59, v70
	s_delay_alu instid0(VALU_DEP_3) | instskip(SKIP_4) | instid1(VALU_DEP_2)
	v_fma_f32 v129, v58, v70, -v56
	ds_load_2addr_b64 v[56:59], v68 offset0:124 offset1:226
	s_wait_loadcnt_dscnt 0x0
	v_mul_f32_e32 v69, v57, v73
	v_mul_f32_e32 v132, v56, v73
	v_fma_f32 v131, v56, v72, -v69
	s_delay_alu instid0(VALU_DEP_2)
	v_fmac_f32_e32 v132, v57, v72
	s_clause 0x3
	global_load_b64 v[56:57], v135, s[0:1] offset:8976
	global_load_b64 v[70:71], v135, s[0:1] offset:9792
	;; [unrolled: 1-line block ×4, first 2 shown]
	s_wait_loadcnt 0x3
	v_mul_f32_e32 v69, v59, v57
	v_mul_f32_e32 v140, v58, v57
	s_delay_alu instid0(VALU_DEP_2) | instskip(NEXT) | instid1(VALU_DEP_2)
	v_fma_f32 v139, v58, v56, -v69
	v_dual_fmac_f32 v140, v59, v56 :: v_dual_add_nc_u32 v69, 0x2400, v135
	ds_load_2addr_b64 v[56:59], v69 offset0:72 offset1:174
	s_wait_loadcnt_dscnt 0x200
	v_mul_f32_e32 v141, v57, v71
	v_mul_f32_e32 v142, v56, v71
	s_wait_loadcnt 0x1
	v_mul_f32_e32 v144, v58, v73
	s_delay_alu instid0(VALU_DEP_3) | instskip(NEXT) | instid1(VALU_DEP_3)
	v_fma_f32 v141, v56, v70, -v141
	v_fmac_f32_e32 v142, v57, v70
	v_mul_f32_e32 v56, v59, v73
	v_add_nc_u32_e32 v70, 0x2800, v135
	v_fmac_f32_e32 v144, v59, v72
	s_delay_alu instid0(VALU_DEP_3) | instskip(SKIP_4) | instid1(VALU_DEP_2)
	v_fma_f32 v143, v58, v72, -v56
	ds_load_2addr_b64 v[56:59], v70 offset0:148 offset1:250
	s_wait_loadcnt_dscnt 0x0
	v_mul_f32_e32 v71, v57, v134
	v_mul_f32_e32 v72, v56, v134
	v_fma_f32 v71, v56, v133, -v71
	s_delay_alu instid0(VALU_DEP_2)
	v_fmac_f32_e32 v72, v57, v133
	s_clause 0x1
	global_load_b64 v[56:57], v135, s[0:1] offset:12240
	global_load_b64 v[133:134], v135, s[0:1] offset:13056
	s_wait_loadcnt 0x1
	v_mul_f32_e32 v73, v59, v57
	v_mul_f32_e32 v146, v58, v57
	s_wait_loadcnt 0x0
	v_mul_f32_e32 v57, v74, v134
	s_delay_alu instid0(VALU_DEP_3) | instskip(NEXT) | instid1(VALU_DEP_3)
	v_fma_f32 v145, v58, v56, -v73
	v_fmac_f32_e32 v146, v59, v56
	v_mul_f32_e32 v56, v75, v134
	s_delay_alu instid0(VALU_DEP_4) | instskip(NEXT) | instid1(VALU_DEP_2)
	v_fmac_f32_e32 v57, v75, v133
	v_fma_f32 v56, v74, v133, -v56
	ds_store_2addr_b64 v67, v[76:77], v[62:63] offset0:76 offset1:178
	ds_store_2addr_b64 v64, v[78:79], v[121:122] offset0:152 offset1:254
	;; [unrolled: 1-line block ×7, first 2 shown]
	ds_store_b64 v135, v[56:57] offset:13056
	global_wb scope:SCOPE_SE
	s_wait_dscnt 0x0
	s_barrier_signal -1
	s_barrier_wait -1
	global_inv scope:SCOPE_SE
	ds_load_b64 v[62:63], v135 offset:13056
	ds_load_2addr_b64 v[56:59], v135 offset1:102
	ds_load_2addr_b64 v[166:169], v68 offset0:124 offset1:226
	ds_load_2addr_b64 v[180:183], v66 offset0:48 offset1:150
	;; [unrolled: 1-line block ×3, first 2 shown]
	s_wait_dscnt 0x3
	v_sub_f32_e32 v71, v59, v63
	v_add_f32_e32 v79, v62, v58
	s_wait_dscnt 0x1
	s_delay_alu instid0(VALU_DEP_2)
	v_dual_add_f32 v199, v183, v181 :: v_dual_mul_f32 v72, 0xbeb8f4ab, v71
	v_mul_f32_e32 v73, 0xbf2c7751, v71
	v_mul_f32_e32 v75, 0xbf7ee86f, v71
	;; [unrolled: 1-line block ×4, first 2 shown]
	v_fmamk_f32 v121, v79, 0x3f6eb680, v72
	v_fmamk_f32 v122, v79, 0x3f3d2fb0, v73
	v_fma_f32 v73, 0x3f3d2fb0, v79, -v73
	v_mul_f32_e32 v78, 0xbf06c442, v71
	s_delay_alu instid0(VALU_DEP_4)
	v_dual_fmamk_f32 v126, v79, 0xbf1a4643, v77 :: v_dual_add_f32 v159, v56, v121
	v_fma_f32 v72, 0x3f6eb680, v79, -v72
	v_mul_f32_e32 v74, 0xbf65296c, v71
	v_mul_f32_e32 v71, 0xbe3c28d5, v71
	v_fma_f32 v127, 0xbf1a4643, v79, -v77
	v_dual_add_f32 v121, v56, v73 :: v_dual_fmamk_f32 v130, v79, 0xbf59a7d5, v78
	v_fma_f32 v132, 0xbf59a7d5, v79, -v78
	s_delay_alu instid0(VALU_DEP_4)
	v_fmamk_f32 v133, v79, 0xbf7ba420, v71
	v_fma_f32 v144, 0xbf7ba420, v79, -v71
	v_add_f32_e32 v71, v63, v59
	v_fmamk_f32 v123, v79, 0x3ee437d1, v74
	v_fma_f32 v74, 0x3ee437d1, v79, -v74
	v_mul_f32_e32 v213, 0x3f6eb680, v199
	v_mul_f32_e32 v221, 0x3f3d2fb0, v199
	;; [unrolled: 1-line block ×10, first 2 shown]
	v_dual_sub_f32 v71, v58, v62 :: v_dual_add_f32 v154, v56, v123
	v_add_f32_e32 v123, v56, v132
	v_add_f32_e32 v74, v56, v74
	;; [unrolled: 1-line block ×3, first 2 shown]
	s_delay_alu instid0(VALU_DEP_4)
	v_fmamk_f32 v148, v71, 0x3f763a35, v131
	v_fmac_f32_e32 v131, 0xbf763a35, v71
	v_fmamk_f32 v134, v71, 0x3f2c7751, v78
	v_fmamk_f32 v140, v71, 0x3f7ee86f, v129
	v_fmac_f32_e32 v129, 0xbf7ee86f, v71
	v_fmamk_f32 v149, v71, 0x3f4c4adb, v145
	v_mul_f32_e32 v235, 0xbf1a4643, v199
	v_add_f32_e32 v155, v57, v134
	v_fmamk_f32 v125, v79, 0xbe8c1d8e, v76
	v_fma_f32 v76, 0xbe8c1d8e, v79, -v76
	v_dual_fmac_f32 v145, 0xbf4c4adb, v71 :: v_dual_add_f32 v134, v57, v149
	s_delay_alu instid0(VALU_DEP_3) | instskip(NEXT) | instid1(VALU_DEP_3)
	v_add_f32_e32 v141, v56, v125
	v_dual_add_f32 v76, v56, v76 :: v_dual_fmamk_f32 v139, v71, 0x3f65296c, v128
	v_fmamk_f32 v124, v79, 0x3dbcf732, v75
	v_fma_f32 v75, 0x3dbcf732, v79, -v75
	v_fmamk_f32 v79, v71, 0x3eb8f4ab, v77
	v_fmac_f32_e32 v128, 0xbf65296c, v71
	v_fmac_f32_e32 v77, 0xbeb8f4ab, v71
	v_fmamk_f32 v151, v71, 0x3e3c28d5, v147
	v_fmac_f32_e32 v147, 0xbe3c28d5, v71
	v_add_f32_e32 v158, v57, v79
	v_add_f32_e32 v153, v57, v139
	;; [unrolled: 1-line block ×3, first 2 shown]
	v_dual_add_f32 v143, v56, v124 :: v_dual_fmac_f32 v78, 0xbf2c7751, v71
	v_dual_add_f32 v139, v56, v126 :: v_dual_fmamk_f32 v150, v71, 0x3f06c442, v146
	v_dual_add_f32 v125, v56, v144 :: v_dual_fmac_f32 v146, 0xbf06c442, v71
	v_dual_add_f32 v71, v56, v72 :: v_dual_add_f32 v72, v57, v77
	s_delay_alu instid0(VALU_DEP_4)
	v_add_f32_e32 v79, v57, v78
	v_add_f32_e32 v156, v56, v122
	v_dual_add_f32 v78, v56, v75 :: v_dual_add_f32 v77, v57, v129
	v_dual_add_f32 v129, v56, v127 :: v_dual_add_f32 v142, v57, v140
	v_add_f32_e32 v128, v57, v145
	v_dual_add_f32 v122, v57, v146 :: v_dual_add_f32 v127, v56, v133
	v_add_f32_e32 v140, v57, v148
	v_add_f32_e32 v75, v57, v131
	v_dual_add_f32 v131, v56, v130 :: v_dual_add_f32 v124, v57, v147
	v_add_f32_e32 v133, v57, v59
	ds_load_2addr_b64 v[144:147], v65 offset0:100 offset1:202
	v_add_f32_e32 v130, v57, v150
	v_add_f32_e32 v126, v57, v151
	ds_load_2addr_b64 v[56:59], v67 offset0:76 offset1:178
	s_wait_dscnt 0x1
	v_sub_f32_e32 v160, v147, v167
	v_add_f32_e32 v161, v167, v147
	v_sub_f32_e32 v151, v145, v169
	s_wait_dscnt 0x0
	v_dual_add_f32 v133, v133, v57 :: v_dual_add_f32 v132, v132, v56
	s_delay_alu instid0(VALU_DEP_3) | instskip(NEXT) | instid1(VALU_DEP_3)
	v_mul_f32_e32 v203, 0x3ee437d1, v161
	v_mul_f32_e32 v216, 0xbf06c442, v151
	s_delay_alu instid0(VALU_DEP_3) | instskip(SKIP_3) | instid1(VALU_DEP_4)
	v_dual_add_f32 v133, v133, v59 :: v_dual_add_f32 v132, v132, v58
	v_mul_f32_e32 v219, 0xbf1a4643, v161
	v_mul_f32_e32 v244, 0xbf2c7751, v151
	;; [unrolled: 1-line block ×3, first 2 shown]
	v_dual_add_f32 v133, v133, v163 :: v_dual_add_f32 v132, v132, v162
	s_delay_alu instid0(VALU_DEP_1) | instskip(NEXT) | instid1(VALU_DEP_1)
	v_dual_add_f32 v133, v133, v165 :: v_dual_add_f32 v132, v132, v164
	v_dual_add_f32 v133, v133, v145 :: v_dual_add_f32 v132, v132, v144
	s_delay_alu instid0(VALU_DEP_1) | instskip(SKIP_2) | instid1(VALU_DEP_3)
	v_dual_add_f32 v149, v133, v147 :: v_dual_add_f32 v148, v132, v146
	v_add_f32_e32 v132, v168, v144
	v_dual_sub_f32 v133, v144, v168 :: v_dual_add_f32 v144, v166, v146
	v_add_f32_e32 v147, v149, v181
	v_mul_f32_e32 v247, 0xbf7ba420, v161
	s_delay_alu instid0(VALU_DEP_2) | instskip(SKIP_1) | instid1(VALU_DEP_2)
	v_dual_add_f32 v147, v147, v183 :: v_dual_add_f32 v152, v169, v145
	v_dual_sub_f32 v145, v146, v166 :: v_dual_add_f32 v146, v148, v180
	v_add_f32_e32 v147, v147, v167
	s_delay_alu instid0(VALU_DEP_3) | instskip(SKIP_2) | instid1(VALU_DEP_4)
	v_mul_f32_e32 v201, 0xbe8c1d8e, v152
	v_mul_f32_e32 v231, 0x3dbcf732, v152
	;; [unrolled: 1-line block ×3, first 2 shown]
	v_dual_add_f32 v157, v147, v169 :: v_dual_add_f32 v146, v146, v182
	s_delay_alu instid0(VALU_DEP_2) | instskip(NEXT) | instid1(VALU_DEP_2)
	v_fmamk_f32 v82, v133, 0x3e3c28d5, v81
	v_add_f32_e32 v146, v146, v166
	s_delay_alu instid0(VALU_DEP_1)
	v_add_f32_e32 v150, v146, v168
	ds_load_2addr_b64 v[166:169], v69 offset0:72 offset1:174
	s_wait_dscnt 0x0
	v_dual_add_f32 v146, v168, v162 :: v_dual_add_f32 v147, v166, v164
	v_dual_sub_f32 v175, v163, v169 :: v_dual_add_f32 v174, v169, v163
	v_sub_f32_e32 v149, v162, v168
	v_dual_sub_f32 v173, v165, v167 :: v_dual_add_f32 v172, v167, v165
	v_sub_f32_e32 v148, v164, v166
	ds_load_2addr_b64 v[162:165], v70 offset0:148 offset1:250
	v_add_f32_e32 v157, v157, v167
	v_mul_f32_e32 v197, 0x3f06c442, v173
	v_mul_f32_e32 v194, 0xbe3c28d5, v175
	v_mul_f32_e32 v202, 0x3f65296c, v160
	global_wb scope:SCOPE_SE
	s_wait_dscnt 0x0
	v_add_f32_e32 v157, v157, v169
	s_barrier_signal -1
	s_barrier_wait -1
	global_inv scope:SCOPE_SE
	v_mul_f32_e32 v228, 0xbe3c28d5, v173
	v_mul_f32_e32 v218, 0x3f4c4adb, v160
	;; [unrolled: 1-line block ×6, first 2 shown]
	s_delay_alu instid0(VALU_DEP_4) | instskip(SKIP_3) | instid1(VALU_DEP_3)
	v_dual_fmamk_f32 v84, v144, 0x3f3d2fb0, v83 :: v_dual_add_f32 v177, v165, v57
	v_dual_add_f32 v150, v150, v166 :: v_dual_add_f32 v157, v157, v163
	v_dual_sub_f32 v179, v57, v165 :: v_dual_add_f32 v176, v163, v59
	v_sub_f32_e32 v178, v59, v163
	v_dual_add_f32 v166, v150, v168 :: v_dual_add_f32 v163, v157, v165
	v_dual_add_f32 v150, v164, v56 :: v_dual_add_f32 v57, v162, v58
	v_sub_f32_e32 v58, v58, v162
	s_delay_alu instid0(VALU_DEP_3) | instskip(NEXT) | instid1(VALU_DEP_4)
	v_add_f32_e32 v59, v166, v162
	v_dual_sub_f32 v157, v180, v182 :: v_dual_add_f32 v206, v163, v63
	v_mul_f32_e32 v63, 0xbf2c7751, v179
	s_delay_alu instid0(VALU_DEP_3) | instskip(SKIP_3) | instid1(VALU_DEP_4)
	v_dual_mul_f32 v191, 0x3dbcf732, v177 :: v_dual_add_f32 v162, v59, v164
	v_sub_f32_e32 v56, v56, v164
	v_dual_add_f32 v59, v182, v180 :: v_dual_mul_f32 v190, 0xbf7ee86f, v179
	v_mul_f32_e32 v192, 0xbf4c4adb, v178
	v_add_f32_e32 v205, v162, v62
	v_fmamk_f32 v62, v150, 0x3f3d2fb0, v63
	v_mul_f32_e32 v193, 0xbf1a4643, v176
	v_mul_f32_e32 v195, 0xbf7ba420, v174
	v_mul_f32_e32 v198, 0xbf59a7d5, v172
	v_mul_f32_e32 v200, 0x3f763a35, v151
	v_add_f32_e32 v162, v62, v159
	v_mul_f32_e32 v62, 0x3f3d2fb0, v177
	v_mul_f32_e32 v223, 0xbf59a7d5, v177
	;; [unrolled: 1-line block ×4, first 2 shown]
	s_delay_alu instid0(VALU_DEP_4) | instskip(SKIP_3) | instid1(VALU_DEP_4)
	v_dual_mul_f32 v224, 0x3f2c7751, v178 :: v_dual_fmamk_f32 v159, v56, 0x3f2c7751, v62
	v_dual_sub_f32 v196, v181, v183 :: v_dual_mul_f32 v225, 0x3f3d2fb0, v176
	v_mul_f32_e32 v229, 0xbf7ba420, v172
	v_mul_f32_e32 v243, 0x3dbcf732, v172
	v_add_f32_e32 v163, v159, v158
	v_mul_f32_e32 v159, 0xbf65296c, v178
	v_mul_f32_e32 v204, 0x3eb8f4ab, v196
	;; [unrolled: 1-line block ×5, first 2 shown]
	v_fmamk_f32 v158, v57, 0x3ee437d1, v159
	v_mul_f32_e32 v230, 0x3f7ee86f, v151
	v_mul_f32_e32 v237, 0xbe8c1d8e, v177
	;; [unrolled: 1-line block ×4, first 2 shown]
	v_add_f32_e32 v162, v158, v162
	v_mul_f32_e32 v158, 0x3ee437d1, v176
	v_mul_f32_e32 v239, 0x3f6eb680, v176
	;; [unrolled: 1-line block ×3, first 2 shown]
	v_fma_f32 v63, 0x3f3d2fb0, v150, -v63
	s_delay_alu instid0(VALU_DEP_4) | instskip(NEXT) | instid1(VALU_DEP_3)
	v_fmamk_f32 v164, v58, 0x3f65296c, v158
	v_fmamk_f32 v86, v59, 0xbe8c1d8e, v85
	v_mul_f32_e32 v241, 0xbf59a7d5, v174
	v_mul_f32_e32 v240, 0xbf06c442, v175
	s_delay_alu instid0(VALU_DEP_4) | instskip(SKIP_1) | instid1(VALU_DEP_1)
	v_add_f32_e32 v164, v164, v163
	v_mul_f32_e32 v163, 0xbf7ee86f, v175
	v_fmamk_f32 v165, v146, 0x3dbcf732, v163
	s_delay_alu instid0(VALU_DEP_1) | instskip(SKIP_1) | instid1(VALU_DEP_1)
	v_add_f32_e32 v165, v165, v162
	v_mul_f32_e32 v162, 0x3dbcf732, v174
	v_fmamk_f32 v166, v149, 0x3f7ee86f, v162
	v_fmac_f32_e32 v162, 0xbf7ee86f, v149
	s_delay_alu instid0(VALU_DEP_2) | instskip(SKIP_1) | instid1(VALU_DEP_1)
	v_add_f32_e32 v166, v166, v164
	v_mul_f32_e32 v164, 0xbf763a35, v173
	v_fmamk_f32 v167, v147, 0xbe8c1d8e, v164
	s_delay_alu instid0(VALU_DEP_1) | instskip(SKIP_1) | instid1(VALU_DEP_1)
	v_add_f32_e32 v167, v167, v165
	v_mul_f32_e32 v165, 0xbe8c1d8e, v172
	v_fmamk_f32 v168, v148, 0x3f763a35, v165
	s_delay_alu instid0(VALU_DEP_1) | instskip(SKIP_2) | instid1(VALU_DEP_2)
	v_add_f32_e32 v168, v168, v166
	v_mul_f32_e32 v166, 0xbf4c4adb, v151
	v_fmac_f32_e32 v165, 0xbf763a35, v148
	v_fmamk_f32 v169, v132, 0xbf1a4643, v166
	s_delay_alu instid0(VALU_DEP_1) | instskip(SKIP_2) | instid1(VALU_DEP_2)
	v_add_f32_e32 v169, v169, v167
	v_mul_f32_e32 v167, 0xbf1a4643, v152
	v_fmac_f32_e32 v62, 0xbf2c7751, v56
	v_fmamk_f32 v170, v133, 0x3f4c4adb, v167
	s_delay_alu instid0(VALU_DEP_1) | instskip(SKIP_1) | instid1(VALU_DEP_1)
	v_add_f32_e32 v170, v170, v168
	v_mul_f32_e32 v168, 0xbf06c442, v160
	v_fmamk_f32 v171, v144, 0xbf59a7d5, v168
	s_delay_alu instid0(VALU_DEP_1) | instskip(SKIP_2) | instid1(VALU_DEP_2)
	v_add_f32_e32 v171, v171, v169
	v_mul_f32_e32 v169, 0xbf59a7d5, v161
	v_fmac_f32_e32 v158, 0xbf65296c, v58
	v_fmamk_f32 v180, v145, 0x3f06c442, v169
	s_delay_alu instid0(VALU_DEP_1) | instskip(SKIP_2) | instid1(VALU_DEP_2)
	v_add_f32_e32 v180, v180, v170
	v_mul_f32_e32 v170, 0xbe3c28d5, v196
	v_fmac_f32_e32 v167, 0xbf4c4adb, v133
	v_fmamk_f32 v181, v59, 0xbf7ba420, v170
	s_delay_alu instid0(VALU_DEP_1) | instskip(SKIP_1) | instid1(VALU_DEP_1)
	v_add_f32_e32 v207, v181, v171
	v_mul_f32_e32 v171, 0xbf7ba420, v199
	v_fmamk_f32 v181, v157, 0x3e3c28d5, v171
	s_delay_alu instid0(VALU_DEP_1) | instskip(SKIP_1) | instid1(VALU_DEP_1)
	v_add_f32_e32 v208, v181, v180
	v_fmamk_f32 v180, v150, 0x3dbcf732, v190
	v_add_f32_e32 v156, v180, v156
	v_fmamk_f32 v180, v56, 0x3f7ee86f, v191
	v_fmac_f32_e32 v191, 0xbf7ee86f, v56
	s_delay_alu instid0(VALU_DEP_2) | instskip(NEXT) | instid1(VALU_DEP_1)
	v_dual_add_f32 v155, v180, v155 :: v_dual_fmamk_f32 v180, v57, 0xbf1a4643, v192
	v_dual_add_f32 v79, v191, v79 :: v_dual_add_f32 v156, v180, v156
	v_fmamk_f32 v180, v58, 0x3f4c4adb, v193
	v_fmac_f32_e32 v193, 0xbf4c4adb, v58
	v_fmac_f32_e32 v171, 0xbe3c28d5, v157
	s_delay_alu instid0(VALU_DEP_3) | instskip(NEXT) | instid1(VALU_DEP_1)
	v_dual_add_f32 v155, v180, v155 :: v_dual_fmamk_f32 v180, v146, 0xbf7ba420, v194
	v_dual_add_f32 v79, v193, v79 :: v_dual_add_f32 v156, v180, v156
	v_fmamk_f32 v180, v149, 0x3e3c28d5, v195
	v_fmac_f32_e32 v195, 0xbe3c28d5, v149
	s_delay_alu instid0(VALU_DEP_2) | instskip(NEXT) | instid1(VALU_DEP_1)
	v_dual_add_f32 v155, v180, v155 :: v_dual_fmamk_f32 v180, v147, 0xbf59a7d5, v197
	v_dual_add_f32 v79, v195, v79 :: v_dual_add_f32 v156, v180, v156
	v_fmamk_f32 v180, v148, 0xbf06c442, v198
	s_delay_alu instid0(VALU_DEP_1) | instskip(SKIP_1) | instid1(VALU_DEP_1)
	v_add_f32_e32 v155, v180, v155
	v_fmamk_f32 v180, v132, 0xbe8c1d8e, v200
	v_add_f32_e32 v156, v180, v156
	v_fmamk_f32 v180, v133, 0xbf763a35, v201
	v_fmac_f32_e32 v201, 0x3f763a35, v133
	s_delay_alu instid0(VALU_DEP_2) | instskip(SKIP_1) | instid1(VALU_DEP_1)
	v_add_f32_e32 v155, v180, v155
	v_fmamk_f32 v180, v144, 0x3ee437d1, v202
	v_add_f32_e32 v156, v180, v156
	v_fmamk_f32 v180, v145, 0xbf65296c, v203
	v_fmac_f32_e32 v203, 0x3f65296c, v145
	s_delay_alu instid0(VALU_DEP_2) | instskip(NEXT) | instid1(VALU_DEP_1)
	v_dual_add_f32 v155, v180, v155 :: v_dual_fmamk_f32 v180, v59, 0x3f6eb680, v204
	v_dual_add_f32 v209, v180, v156 :: v_dual_fmamk_f32 v156, v157, 0xbeb8f4ab, v213
	s_delay_alu instid0(VALU_DEP_1) | instskip(SKIP_1) | instid1(VALU_DEP_1)
	v_dual_fmac_f32 v213, 0x3eb8f4ab, v157 :: v_dual_add_f32 v210, v156, v155
	v_mul_f32_e32 v155, 0xbf4c4adb, v179
	v_fmamk_f32 v156, v150, 0xbf1a4643, v155
	s_delay_alu instid0(VALU_DEP_1) | instskip(SKIP_1) | instid1(VALU_DEP_1)
	v_add_f32_e32 v156, v156, v154
	v_mul_f32_e32 v154, 0xbf1a4643, v177
	v_fmamk_f32 v180, v56, 0x3f4c4adb, v154
	s_delay_alu instid0(VALU_DEP_1) | instskip(NEXT) | instid1(VALU_DEP_1)
	v_dual_add_f32 v180, v180, v153 :: v_dual_mul_f32 v153, 0x3e3c28d5, v178
	v_fmamk_f32 v181, v57, 0xbf7ba420, v153
	s_delay_alu instid0(VALU_DEP_1) | instskip(SKIP_1) | instid1(VALU_DEP_1)
	v_add_f32_e32 v181, v181, v156
	v_mul_f32_e32 v156, 0xbf7ba420, v176
	v_fmamk_f32 v182, v58, 0xbe3c28d5, v156
	s_delay_alu instid0(VALU_DEP_1) | instskip(SKIP_1) | instid1(VALU_DEP_1)
	v_add_f32_e32 v182, v182, v180
	v_mul_f32_e32 v180, 0x3f763a35, v175
	;; [unrolled: 4-line block ×3, first 2 shown]
	v_fmamk_f32 v184, v149, 0xbf763a35, v181
	s_delay_alu instid0(VALU_DEP_1) | instskip(SKIP_1) | instid1(VALU_DEP_1)
	v_dual_fmac_f32 v181, 0x3f763a35, v149 :: v_dual_add_f32 v184, v184, v182
	v_mul_f32_e32 v182, 0x3f2c7751, v173
	v_fmamk_f32 v185, v147, 0x3f3d2fb0, v182
	s_delay_alu instid0(VALU_DEP_1) | instskip(SKIP_1) | instid1(VALU_DEP_1)
	v_add_f32_e32 v185, v185, v183
	v_mul_f32_e32 v183, 0x3f3d2fb0, v172
	v_fmamk_f32 v186, v148, 0xbf2c7751, v183
	s_delay_alu instid0(VALU_DEP_1) | instskip(SKIP_1) | instid1(VALU_DEP_1)
	v_add_f32_e32 v186, v186, v184
	;; [unrolled: 4-line block ×3, first 2 shown]
	v_mul_f32_e32 v185, 0x3f6eb680, v152
	v_fmamk_f32 v188, v133, 0x3eb8f4ab, v185
	s_delay_alu instid0(VALU_DEP_1) | instskip(SKIP_2) | instid1(VALU_DEP_2)
	v_dual_fmac_f32 v185, 0xbeb8f4ab, v133 :: v_dual_add_f32 v188, v188, v186
	v_mul_f32_e32 v186, 0xbf7ee86f, v160
	v_fmac_f32_e32 v183, 0x3f2c7751, v148
	v_fmamk_f32 v189, v144, 0x3dbcf732, v186
	s_delay_alu instid0(VALU_DEP_1) | instskip(SKIP_1) | instid1(VALU_DEP_1)
	v_add_f32_e32 v189, v189, v187
	v_mul_f32_e32 v187, 0x3dbcf732, v161
	v_fmamk_f32 v211, v145, 0x3f7ee86f, v187
	s_delay_alu instid0(VALU_DEP_1) | instskip(SKIP_1) | instid1(VALU_DEP_1)
	v_dual_fmac_f32 v187, 0xbf7ee86f, v145 :: v_dual_add_f32 v212, v211, v188
	v_mul_f32_e32 v188, 0xbf06c442, v196
	v_fmamk_f32 v211, v59, 0xbf59a7d5, v188
	s_delay_alu instid0(VALU_DEP_1) | instskip(SKIP_1) | instid1(VALU_DEP_1)
	v_add_f32_e32 v211, v211, v189
	v_mul_f32_e32 v189, 0xbf59a7d5, v199
	v_fmamk_f32 v214, v157, 0x3f06c442, v189
	s_delay_alu instid0(VALU_DEP_1)
	v_dual_fmac_f32 v189, 0xbf06c442, v157 :: v_dual_add_f32 v212, v214, v212
	ds_store_2addr_b64 v138, v[205:206], v[207:208] offset1:1
	ds_store_2addr_b64 v138, v[209:210], v[211:212] offset0:2 offset1:3
	v_mul_f32_e32 v207, 0xbe3c28d5, v179
	v_mul_f32_e32 v208, 0xbf7ba420, v177
	;; [unrolled: 1-line block ×5, first 2 shown]
	v_fmamk_f32 v205, v150, 0xbf7ba420, v207
	v_mul_f32_e32 v212, 0x3f6eb680, v174
	v_mul_f32_e32 v214, 0xbf65296c, v173
	s_delay_alu instid0(VALU_DEP_3) | instskip(SKIP_1) | instid1(VALU_DEP_1)
	v_dual_fmac_f32 v156, 0x3e3c28d5, v58 :: v_dual_add_f32 v143, v205, v143
	v_fmamk_f32 v205, v56, 0x3e3c28d5, v208
	v_add_f32_e32 v142, v205, v142
	v_fmamk_f32 v205, v57, 0xbe8c1d8e, v209
	s_delay_alu instid0(VALU_DEP_1) | instskip(SKIP_1) | instid1(VALU_DEP_1)
	v_add_f32_e32 v143, v205, v143
	v_fmamk_f32 v205, v58, 0xbf763a35, v210
	v_dual_add_f32 v142, v205, v142 :: v_dual_fmamk_f32 v205, v146, 0x3f6eb680, v211
	s_delay_alu instid0(VALU_DEP_1) | instskip(SKIP_1) | instid1(VALU_DEP_1)
	v_add_f32_e32 v143, v205, v143
	v_fmamk_f32 v205, v149, 0xbeb8f4ab, v212
	v_dual_add_f32 v142, v205, v142 :: v_dual_fmamk_f32 v205, v147, 0x3ee437d1, v214
	s_delay_alu instid0(VALU_DEP_1) | instskip(SKIP_1) | instid1(VALU_DEP_1)
	v_add_f32_e32 v143, v205, v143
	v_fmamk_f32 v205, v148, 0x3f65296c, v215
	v_dual_fmac_f32 v215, 0xbf65296c, v148 :: v_dual_add_f32 v142, v205, v142
	v_fmamk_f32 v205, v132, 0xbf59a7d5, v216
	v_mul_f32_e32 v217, 0xbf59a7d5, v152
	v_mul_f32_e32 v152, 0x3ee437d1, v152
	;; [unrolled: 1-line block ×3, first 2 shown]
	s_delay_alu instid0(VALU_DEP_4) | instskip(NEXT) | instid1(VALU_DEP_4)
	v_add_f32_e32 v143, v205, v143
	v_fmamk_f32 v205, v133, 0x3f06c442, v217
	v_fmac_f32_e32 v154, 0xbf4c4adb, v56
	s_delay_alu instid0(VALU_DEP_2) | instskip(SKIP_1) | instid1(VALU_DEP_3)
	v_dual_add_f32 v142, v205, v142 :: v_dual_fmamk_f32 v205, v144, 0xbf1a4643, v218
	v_fmac_f32_e32 v217, 0xbf06c442, v133
	v_add_f32_e32 v73, v154, v73
	s_delay_alu instid0(VALU_DEP_3) | instskip(SKIP_1) | instid1(VALU_DEP_3)
	v_add_f32_e32 v143, v205, v143
	v_fmamk_f32 v205, v145, 0xbf4c4adb, v219
	v_add_f32_e32 v73, v156, v73
	s_delay_alu instid0(VALU_DEP_2) | instskip(NEXT) | instid1(VALU_DEP_1)
	v_dual_add_f32 v205, v205, v142 :: v_dual_fmamk_f32 v142, v59, 0x3f3d2fb0, v220
	v_dual_add_f32 v73, v181, v73 :: v_dual_add_f32 v142, v142, v143
	v_fmamk_f32 v143, v157, 0xbf2c7751, v221
	v_fmac_f32_e32 v221, 0x3f2c7751, v157
	s_delay_alu instid0(VALU_DEP_3) | instskip(NEXT) | instid1(VALU_DEP_3)
	v_add_f32_e32 v73, v183, v73
	v_add_f32_e32 v143, v143, v205
	v_fmamk_f32 v205, v150, 0xbf59a7d5, v222
	s_delay_alu instid0(VALU_DEP_3) | instskip(NEXT) | instid1(VALU_DEP_2)
	v_add_f32_e32 v73, v185, v73
	v_add_f32_e32 v141, v205, v141
	v_fmamk_f32 v205, v56, 0xbf06c442, v223
	s_delay_alu instid0(VALU_DEP_1) | instskip(SKIP_2) | instid1(VALU_DEP_2)
	v_add_f32_e32 v140, v205, v140
	v_fmamk_f32 v205, v57, 0x3f3d2fb0, v224
	v_fmac_f32_e32 v219, 0x3f4c4adb, v145
	v_add_f32_e32 v141, v205, v141
	v_fmamk_f32 v205, v58, 0xbf2c7751, v225
	s_delay_alu instid0(VALU_DEP_1) | instskip(SKIP_1) | instid1(VALU_DEP_2)
	v_dual_add_f32 v140, v205, v140 :: v_dual_fmamk_f32 v205, v146, 0x3ee437d1, v226
	v_mul_f32_e32 v227, 0x3ee437d1, v174
	v_add_f32_e32 v141, v205, v141
	s_delay_alu instid0(VALU_DEP_2) | instskip(NEXT) | instid1(VALU_DEP_1)
	v_fmamk_f32 v205, v149, 0x3f65296c, v227
	v_dual_add_f32 v140, v205, v140 :: v_dual_fmamk_f32 v205, v147, 0xbf7ba420, v228
	v_fmac_f32_e32 v208, 0xbe3c28d5, v56
	v_fmac_f32_e32 v227, 0xbf65296c, v149
	s_delay_alu instid0(VALU_DEP_3) | instskip(SKIP_1) | instid1(VALU_DEP_1)
	v_add_f32_e32 v141, v205, v141
	v_fmamk_f32 v205, v148, 0x3e3c28d5, v229
	v_dual_add_f32 v77, v208, v77 :: v_dual_add_f32 v140, v205, v140
	v_fmamk_f32 v205, v132, 0x3dbcf732, v230
	s_delay_alu instid0(VALU_DEP_1) | instskip(SKIP_1) | instid1(VALU_DEP_1)
	v_add_f32_e32 v141, v205, v141
	v_fmamk_f32 v205, v133, 0xbf7ee86f, v231
	v_dual_add_f32 v140, v205, v140 :: v_dual_fmamk_f32 v205, v144, 0x3f6eb680, v232
	s_delay_alu instid0(VALU_DEP_1) | instskip(SKIP_1) | instid1(VALU_DEP_1)
	v_add_f32_e32 v141, v205, v141
	v_fmamk_f32 v205, v145, 0x3eb8f4ab, v233
	v_dual_add_f32 v205, v205, v140 :: v_dual_fmamk_f32 v140, v59, 0xbf1a4643, v234
	s_delay_alu instid0(VALU_DEP_1) | instskip(SKIP_2) | instid1(VALU_DEP_3)
	v_dual_add_f32 v140, v140, v141 :: v_dual_fmamk_f32 v141, v157, 0x3f4c4adb, v235
	v_fmac_f32_e32 v235, 0xbf4c4adb, v157
	v_fmac_f32_e32 v223, 0x3f06c442, v56
	v_add_f32_e32 v141, v141, v205
	v_fmamk_f32 v205, v150, 0xbe8c1d8e, v236
	s_delay_alu instid0(VALU_DEP_3) | instskip(NEXT) | instid1(VALU_DEP_2)
	v_add_f32_e32 v75, v223, v75
	v_add_f32_e32 v139, v205, v139
	v_fmamk_f32 v205, v56, 0xbf763a35, v237
	s_delay_alu instid0(VALU_DEP_1) | instskip(SKIP_2) | instid1(VALU_DEP_2)
	v_add_f32_e32 v134, v205, v134
	v_fmamk_f32 v205, v57, 0x3f6eb680, v238
	v_fmac_f32_e32 v225, 0x3f2c7751, v58
	v_dual_fmac_f32 v210, 0x3f763a35, v58 :: v_dual_add_f32 v139, v205, v139
	s_delay_alu instid0(VALU_DEP_2) | instskip(SKIP_1) | instid1(VALU_DEP_3)
	v_add_f32_e32 v75, v225, v75
	v_fmamk_f32 v205, v58, 0x3eb8f4ab, v239
	v_dual_fmac_f32 v198, 0x3f06c442, v148 :: v_dual_add_f32 v77, v210, v77
	s_delay_alu instid0(VALU_DEP_3) | instskip(NEXT) | instid1(VALU_DEP_3)
	v_dual_fmac_f32 v212, 0x3eb8f4ab, v149 :: v_dual_add_f32 v75, v227, v75
	v_dual_add_f32 v134, v205, v134 :: v_dual_fmamk_f32 v205, v146, 0xbf59a7d5, v240
	s_delay_alu instid0(VALU_DEP_3) | instskip(NEXT) | instid1(VALU_DEP_3)
	v_add_f32_e32 v79, v198, v79
	v_add_f32_e32 v77, v212, v77
	v_fmac_f32_e32 v229, 0xbe3c28d5, v148
	s_delay_alu instid0(VALU_DEP_4) | instskip(SKIP_4) | instid1(VALU_DEP_4)
	v_add_f32_e32 v139, v205, v139
	v_fmamk_f32 v205, v149, 0x3f06c442, v241
	v_add_f32_e32 v79, v201, v79
	v_add_f32_e32 v77, v215, v77
	;; [unrolled: 1-line block ×3, first 2 shown]
	v_dual_add_f32 v134, v205, v134 :: v_dual_fmamk_f32 v205, v147, 0x3dbcf732, v242
	s_delay_alu instid0(VALU_DEP_4) | instskip(NEXT) | instid1(VALU_DEP_4)
	v_add_f32_e32 v79, v203, v79
	v_add_f32_e32 v77, v217, v77
	v_fmac_f32_e32 v231, 0x3f7ee86f, v133
	s_delay_alu instid0(VALU_DEP_4) | instskip(SKIP_1) | instid1(VALU_DEP_1)
	v_add_f32_e32 v139, v205, v139
	v_fmamk_f32 v205, v148, 0xbf7ee86f, v243
	v_dual_add_f32 v75, v231, v75 :: v_dual_add_f32 v134, v205, v134
	v_fmamk_f32 v205, v132, 0x3f3d2fb0, v244
	v_fmac_f32_e32 v233, 0xbeb8f4ab, v145
	s_delay_alu instid0(VALU_DEP_2) | instskip(SKIP_2) | instid1(VALU_DEP_2)
	v_add_f32_e32 v139, v205, v139
	v_fmamk_f32 v205, v133, 0x3f2c7751, v245
	v_mul_f32_e32 v246, 0xbe3c28d5, v160
	v_dual_fmac_f32 v245, 0xbf2c7751, v133 :: v_dual_add_f32 v134, v205, v134
	s_delay_alu instid0(VALU_DEP_2) | instskip(SKIP_1) | instid1(VALU_DEP_2)
	v_fmamk_f32 v205, v144, 0xbf7ba420, v246
	v_fmac_f32_e32 v237, 0x3f763a35, v56
	v_add_f32_e32 v139, v205, v139
	v_fmamk_f32 v205, v145, 0x3e3c28d5, v247
	s_delay_alu instid0(VALU_DEP_1) | instskip(SKIP_1) | instid1(VALU_DEP_2)
	v_dual_add_f32 v134, v205, v134 :: v_dual_fmamk_f32 v205, v59, 0x3ee437d1, v248
	v_fmac_f32_e32 v239, 0xbeb8f4ab, v58
	v_add_f32_e32 v205, v205, v139
	v_mul_f32_e32 v139, 0x3ee437d1, v199
	s_delay_alu instid0(VALU_DEP_1) | instskip(NEXT) | instid1(VALU_DEP_1)
	v_fmamk_f32 v206, v157, 0xbf65296c, v139
	v_add_f32_e32 v206, v206, v134
	v_mul_f32_e32 v134, 0x3f65296c, v179
	s_delay_alu instid0(VALU_DEP_1) | instskip(NEXT) | instid1(VALU_DEP_1)
	v_fmamk_f32 v249, v150, 0x3ee437d1, v134
	;; [unrolled: 4-line block ×9, first 2 shown]
	v_add_f32_e32 v130, v136, v130
	v_mul_f32_e32 v136, 0xbe3c28d5, v151
	s_delay_alu instid0(VALU_DEP_2) | instskip(NEXT) | instid1(VALU_DEP_2)
	v_add_f32_e32 v82, v82, v130
	v_fmamk_f32 v80, v132, 0xbf7ba420, v136
	s_delay_alu instid0(VALU_DEP_1) | instskip(NEXT) | instid1(VALU_DEP_1)
	v_dual_fmac_f32 v247, 0xbe3c28d5, v145 :: v_dual_add_f32 v80, v80, v131
	v_add_f32_e32 v80, v84, v80
	v_mul_f32_e32 v84, 0x3f3d2fb0, v161
	v_mul_f32_e32 v161, 0xbe8c1d8e, v161
	;; [unrolled: 1-line block ×3, first 2 shown]
	s_delay_alu instid0(VALU_DEP_3) | instskip(SKIP_1) | instid1(VALU_DEP_2)
	v_fmamk_f32 v130, v145, 0xbf2c7751, v84
	v_fmac_f32_e32 v84, 0x3f2c7751, v145
	v_add_f32_e32 v82, v130, v82
	v_add_f32_e32 v130, v86, v80
	v_mul_f32_e32 v80, 0xbe8c1d8e, v199
	v_fmac_f32_e32 v241, 0xbf06c442, v149
	s_delay_alu instid0(VALU_DEP_2) | instskip(NEXT) | instid1(VALU_DEP_1)
	v_fmamk_f32 v86, v157, 0x3f763a35, v80
	v_dual_fmac_f32 v80, 0xbf763a35, v157 :: v_dual_add_f32 v131, v86, v82
	v_fma_f32 v82, 0xbe8c1d8e, v150, -v236
	v_add_f32_e32 v86, v237, v128
	v_fma_f32 v128, 0x3f6eb680, v57, -v238
	ds_store_2addr_b64 v138, v[142:143], v[140:141] offset0:4 offset1:5
	ds_store_2addr_b64 v138, v[205:206], v[130:131] offset0:6 offset1:7
	v_mul_f32_e32 v130, 0x3f6eb680, v177
	v_add_f32_e32 v82, v82, v129
	v_dual_add_f32 v86, v239, v86 :: v_dual_fmac_f32 v243, 0x3f7ee86f, v148
	v_mul_f32_e32 v131, 0xbf06c442, v178
	v_mul_f32_e32 v140, 0x3f2c7751, v175
	s_delay_alu instid0(VALU_DEP_4)
	v_add_f32_e32 v82, v128, v82
	v_fma_f32 v128, 0xbf59a7d5, v146, -v240
	v_add_f32_e32 v86, v241, v86
	v_mul_f32_e32 v141, 0x3f3d2fb0, v174
	v_mul_f32_e32 v143, 0xbf1a4643, v172
	;; [unrolled: 1-line block ×3, first 2 shown]
	v_add_f32_e32 v82, v128, v82
	v_fma_f32 v128, 0x3dbcf732, v147, -v242
	v_dual_add_f32 v86, v243, v86 :: v_dual_mul_f32 v173, 0x3dbcf732, v199
	v_mul_f32_e32 v172, 0x3f7ee86f, v196
	v_fma_f32 v83, 0x3f3d2fb0, v144, -v83
	s_delay_alu instid0(VALU_DEP_4) | instskip(SKIP_2) | instid1(VALU_DEP_2)
	v_add_f32_e32 v82, v128, v82
	v_fma_f32 v128, 0x3f3d2fb0, v132, -v244
	v_add_f32_e32 v86, v245, v86
	v_add_f32_e32 v82, v128, v82
	v_fma_f32 v128, 0xbf7ba420, v144, -v246
	s_delay_alu instid0(VALU_DEP_3) | instskip(NEXT) | instid1(VALU_DEP_2)
	v_add_f32_e32 v86, v247, v86
	v_add_f32_e32 v82, v128, v82
	v_fma_f32 v128, 0x3ee437d1, v59, -v248
	s_delay_alu instid0(VALU_DEP_1) | instskip(NEXT) | instid1(VALU_DEP_1)
	v_dual_fmac_f32 v139, 0x3f65296c, v157 :: v_dual_add_f32 v128, v128, v82
	v_dual_mul_f32 v82, 0x3eb8f4ab, v179 :: v_dual_add_f32 v129, v139, v86
	v_mul_f32_e32 v139, 0xbf59a7d5, v176
	v_fmac_f32_e32 v249, 0x3f65296c, v56
	s_delay_alu instid0(VALU_DEP_3) | instskip(SKIP_1) | instid1(VALU_DEP_2)
	v_fmamk_f32 v86, v150, 0x3f6eb680, v82
	v_fma_f32 v82, 0x3f6eb680, v150, -v82
	v_dual_fmac_f32 v255, 0xbeb8f4ab, v148 :: v_dual_add_f32 v86, v86, v127
	s_delay_alu instid0(VALU_DEP_2) | instskip(SKIP_3) | instid1(VALU_DEP_4)
	v_dual_fmamk_f32 v127, v56, 0xbeb8f4ab, v130 :: v_dual_add_f32 v82, v82, v125
	v_fmac_f32_e32 v130, 0x3eb8f4ab, v56
	v_fmac_f32_e32 v253, 0x3f4c4adb, v149
	v_fma_f32 v56, 0x3ee437d1, v57, -v159
	v_dual_add_f32 v126, v127, v126 :: v_dual_fmamk_f32 v127, v57, 0xbf59a7d5, v131
	v_fmac_f32_e32 v251, 0xbf7ee86f, v58
	s_delay_alu instid0(VALU_DEP_2) | instskip(NEXT) | instid1(VALU_DEP_1)
	v_dual_add_f32 v86, v127, v86 :: v_dual_fmamk_f32 v127, v58, 0x3f06c442, v139
	v_dual_add_f32 v126, v127, v126 :: v_dual_fmamk_f32 v127, v146, 0x3f3d2fb0, v140
	s_delay_alu instid0(VALU_DEP_1) | instskip(SKIP_1) | instid1(VALU_DEP_1)
	v_dual_fmac_f32 v81, 0xbe3c28d5, v133 :: v_dual_add_f32 v86, v127, v86
	v_fmamk_f32 v127, v149, 0xbf2c7751, v141
	v_dual_fmac_f32 v141, 0x3f2c7751, v149 :: v_dual_add_f32 v126, v127, v126
	v_fmamk_f32 v127, v147, 0xbf1a4643, v142
	s_delay_alu instid0(VALU_DEP_1) | instskip(NEXT) | instid1(VALU_DEP_1)
	v_dual_add_f32 v86, v127, v86 :: v_dual_fmamk_f32 v127, v148, 0x3f4c4adb, v143
	v_dual_add_f32 v126, v127, v126 :: v_dual_mul_f32 v151, 0x3f65296c, v151
	v_dual_fmac_f32 v139, 0xbf06c442, v58 :: v_dual_add_f32 v58, v62, v72
	v_fma_f32 v62, 0x3dbcf732, v146, -v163
	s_delay_alu instid0(VALU_DEP_3) | instskip(NEXT) | instid1(VALU_DEP_1)
	v_fmamk_f32 v127, v132, 0x3ee437d1, v151
	v_dual_add_f32 v86, v127, v86 :: v_dual_fmamk_f32 v127, v133, 0xbf65296c, v152
	v_fmac_f32_e32 v143, 0xbf4c4adb, v148
	v_fmac_f32_e32 v152, 0x3f65296c, v133
	s_delay_alu instid0(VALU_DEP_3) | instskip(NEXT) | instid1(VALU_DEP_1)
	v_dual_add_f32 v126, v127, v126 :: v_dual_fmamk_f32 v127, v144, 0xbe8c1d8e, v160
	v_dual_add_f32 v86, v127, v86 :: v_dual_fmamk_f32 v127, v145, 0x3f763a35, v161
	v_fmac_f32_e32 v161, 0xbf763a35, v145
	s_delay_alu instid0(VALU_DEP_2) | instskip(SKIP_1) | instid1(VALU_DEP_1)
	v_add_f32_e32 v127, v127, v126
	v_fmamk_f32 v126, v59, 0x3dbcf732, v172
	v_add_f32_e32 v126, v126, v86
	v_fmamk_f32 v86, v157, 0xbf7ee86f, v173
	v_fmac_f32_e32 v173, 0x3f7ee86f, v157
	s_delay_alu instid0(VALU_DEP_2) | instskip(SKIP_2) | instid1(VALU_DEP_2)
	v_add_f32_e32 v127, v86, v127
	v_add_f32_e32 v86, v130, v124
	v_fma_f32 v124, 0xbf59a7d5, v57, -v131
	v_add_f32_e32 v86, v139, v86
	s_delay_alu instid0(VALU_DEP_2) | instskip(SKIP_1) | instid1(VALU_DEP_1)
	v_add_f32_e32 v82, v124, v82
	v_fma_f32 v124, 0x3f3d2fb0, v146, -v140
	v_add_f32_e32 v82, v124, v82
	v_fma_f32 v124, 0xbf1a4643, v147, -v142
	s_delay_alu instid0(VALU_DEP_1) | instskip(SKIP_1) | instid1(VALU_DEP_1)
	v_add_f32_e32 v82, v124, v82
	v_fma_f32 v124, 0x3ee437d1, v132, -v151
	v_add_f32_e32 v82, v124, v82
	v_add_f32_e32 v86, v141, v86
	v_fma_f32 v124, 0xbe8c1d8e, v144, -v160
	s_delay_alu instid0(VALU_DEP_2) | instskip(NEXT) | instid1(VALU_DEP_2)
	v_add_f32_e32 v86, v143, v86
	v_add_f32_e32 v82, v124, v82
	v_fma_f32 v124, 0x3dbcf732, v59, -v172
	s_delay_alu instid0(VALU_DEP_3) | instskip(NEXT) | instid1(VALU_DEP_2)
	v_add_f32_e32 v86, v152, v86
	v_add_f32_e32 v124, v124, v82
	v_fma_f32 v82, 0x3ee437d1, v150, -v134
	s_delay_alu instid0(VALU_DEP_3) | instskip(NEXT) | instid1(VALU_DEP_1)
	v_add_f32_e32 v86, v161, v86
	v_dual_add_f32 v82, v82, v123 :: v_dual_add_f32 v125, v173, v86
	v_add_f32_e32 v86, v249, v122
	v_fma_f32 v122, 0x3dbcf732, v57, -v250
	s_delay_alu instid0(VALU_DEP_2) | instskip(NEXT) | instid1(VALU_DEP_2)
	v_add_f32_e32 v86, v251, v86
	v_add_f32_e32 v82, v122, v82
	v_fma_f32 v122, 0xbf1a4643, v146, -v252
	s_delay_alu instid0(VALU_DEP_3) | instskip(NEXT) | instid1(VALU_DEP_2)
	v_add_f32_e32 v86, v253, v86
	v_add_f32_e32 v82, v122, v82
	v_fma_f32 v122, 0x3f6eb680, v147, -v254
	s_delay_alu instid0(VALU_DEP_3) | instskip(NEXT) | instid1(VALU_DEP_1)
	v_add_f32_e32 v86, v255, v86
	v_add_f32_e32 v81, v81, v86
	s_delay_alu instid0(VALU_DEP_1) | instskip(NEXT) | instid1(VALU_DEP_1)
	v_add_f32_e32 v81, v84, v81
	v_add_f32_e32 v123, v80, v81
	v_fma_f32 v80, 0x3dbcf732, v150, -v190
	v_fma_f32 v81, 0xbf1a4643, v57, -v192
	s_delay_alu instid0(VALU_DEP_2) | instskip(NEXT) | instid1(VALU_DEP_1)
	v_add_f32_e32 v80, v80, v121
	v_add_f32_e32 v80, v81, v80
	v_fma_f32 v81, 0xbf7ba420, v146, -v194
	s_delay_alu instid0(VALU_DEP_1) | instskip(SKIP_1) | instid1(VALU_DEP_1)
	v_add_f32_e32 v80, v81, v80
	v_fma_f32 v81, 0xbf59a7d5, v147, -v197
	v_add_f32_e32 v80, v81, v80
	v_fma_f32 v81, 0xbe8c1d8e, v132, -v200
	s_delay_alu instid0(VALU_DEP_1) | instskip(SKIP_1) | instid1(VALU_DEP_1)
	v_add_f32_e32 v80, v81, v80
	v_fma_f32 v81, 0x3ee437d1, v144, -v202
	v_add_f32_e32 v80, v81, v80
	v_fma_f32 v81, 0x3f6eb680, v59, -v204
	;; [unrolled: 2-line block ×3, first 2 shown]
	s_delay_alu instid0(VALU_DEP_1) | instskip(NEXT) | instid1(VALU_DEP_1)
	v_dual_add_f32 v121, v81, v80 :: v_dual_add_f32 v82, v122, v82
	v_add_f32_e32 v82, v83, v82
	v_fma_f32 v83, 0xbe8c1d8e, v59, -v85
	s_delay_alu instid0(VALU_DEP_1) | instskip(SKIP_4) | instid1(VALU_DEP_1)
	v_add_f32_e32 v122, v83, v82
	ds_store_2addr_b64 v138, v[126:127], v[124:125] offset0:8 offset1:9
	ds_store_2addr_b64 v138, v[122:123], v[128:129] offset0:10 offset1:11
	v_add_f32_e32 v122, v213, v79
	v_fma_f32 v79, 0xbf7ba420, v150, -v207
	v_add_f32_e32 v78, v79, v78
	v_fma_f32 v79, 0xbe8c1d8e, v57, -v209
	s_delay_alu instid0(VALU_DEP_1) | instskip(SKIP_1) | instid1(VALU_DEP_1)
	v_add_f32_e32 v78, v79, v78
	v_fma_f32 v79, 0x3f6eb680, v146, -v211
	v_add_f32_e32 v78, v79, v78
	v_fma_f32 v79, 0x3ee437d1, v147, -v214
	s_delay_alu instid0(VALU_DEP_1) | instskip(SKIP_1) | instid1(VALU_DEP_1)
	v_add_f32_e32 v78, v79, v78
	v_fma_f32 v79, 0xbf59a7d5, v132, -v216
	v_add_f32_e32 v78, v79, v78
	v_fma_f32 v79, 0xbf1a4643, v144, -v218
	s_delay_alu instid0(VALU_DEP_1) | instskip(SKIP_2) | instid1(VALU_DEP_1)
	v_add_f32_e32 v78, v79, v78
	v_add_f32_e32 v79, v219, v77
	v_fma_f32 v77, 0x3f3d2fb0, v59, -v220
	v_add_f32_e32 v77, v77, v78
	s_delay_alu instid0(VALU_DEP_3) | instskip(SKIP_1) | instid1(VALU_DEP_1)
	v_add_f32_e32 v78, v221, v79
	v_fma_f32 v79, 0xbf59a7d5, v150, -v222
	v_add_f32_e32 v76, v79, v76
	v_fma_f32 v79, 0x3f3d2fb0, v57, -v224
	s_delay_alu instid0(VALU_DEP_1) | instskip(SKIP_1) | instid1(VALU_DEP_1)
	v_add_f32_e32 v76, v79, v76
	v_fma_f32 v79, 0x3ee437d1, v146, -v226
	v_add_f32_e32 v76, v79, v76
	v_fma_f32 v79, 0xbf7ba420, v147, -v228
	s_delay_alu instid0(VALU_DEP_1) | instskip(SKIP_1) | instid1(VALU_DEP_1)
	;; [unrolled: 5-line block ×3, first 2 shown]
	v_dual_add_f32 v76, v79, v76 :: v_dual_add_f32 v79, v233, v75
	v_fma_f32 v75, 0xbf1a4643, v59, -v234
	v_add_f32_e32 v75, v75, v76
	s_delay_alu instid0(VALU_DEP_3) | instskip(SKIP_1) | instid1(VALU_DEP_1)
	v_add_f32_e32 v76, v235, v79
	v_fma_f32 v79, 0xbf1a4643, v150, -v155
	v_add_f32_e32 v74, v79, v74
	v_fma_f32 v79, 0xbf7ba420, v57, -v153
	v_add_f32_e32 v57, v63, v71
	s_delay_alu instid0(VALU_DEP_2) | instskip(SKIP_1) | instid1(VALU_DEP_3)
	v_add_f32_e32 v74, v79, v74
	v_fma_f32 v79, 0xbe8c1d8e, v146, -v180
	v_dual_add_f32 v56, v56, v57 :: v_dual_add_f32 v57, v158, v58
	v_fma_f32 v58, 0xbe8c1d8e, v147, -v164
	s_delay_alu instid0(VALU_DEP_3) | instskip(SKIP_1) | instid1(VALU_DEP_4)
	v_add_f32_e32 v74, v79, v74
	v_fma_f32 v79, 0x3f3d2fb0, v147, -v182
	v_add_f32_e32 v57, v162, v57
	v_add_f32_e32 v56, v62, v56
	s_delay_alu instid0(VALU_DEP_3) | instskip(SKIP_1) | instid1(VALU_DEP_3)
	v_add_f32_e32 v74, v79, v74
	v_fma_f32 v79, 0x3f6eb680, v132, -v184
	v_dual_add_f32 v57, v165, v57 :: v_dual_add_f32 v56, v58, v56
	v_fma_f32 v58, 0xbf1a4643, v132, -v166
	s_delay_alu instid0(VALU_DEP_3) | instskip(SKIP_1) | instid1(VALU_DEP_3)
	v_add_f32_e32 v74, v79, v74
	v_fma_f32 v79, 0x3dbcf732, v144, -v186
	v_dual_add_f32 v57, v167, v57 :: v_dual_add_f32 v56, v58, v56
	v_fma_f32 v58, 0xbf59a7d5, v144, -v168
	s_delay_alu instid0(VALU_DEP_3) | instskip(SKIP_2) | instid1(VALU_DEP_4)
	v_dual_fmac_f32 v169, 0xbf06c442, v145 :: v_dual_add_f32 v74, v79, v74
	v_add_f32_e32 v79, v187, v73
	v_fma_f32 v73, 0xbf59a7d5, v59, -v188
	v_add_f32_e32 v56, v58, v56
	v_fma_f32 v58, 0xbf7ba420, v59, -v170
	v_add_f32_e32 v57, v169, v57
	s_delay_alu instid0(VALU_DEP_4) | instskip(SKIP_1) | instid1(VALU_DEP_3)
	v_add_f32_e32 v73, v73, v74
	v_add_f32_e32 v74, v189, v79
	v_dual_add_f32 v56, v58, v56 :: v_dual_add_f32 v57, v171, v57
	ds_store_2addr_b64 v138, v[75:76], v[77:78] offset0:12 offset1:13
	ds_store_2addr_b64 v138, v[73:74], v[121:122] offset0:14 offset1:15
	ds_store_b64 v138, v[56:57] offset:128
	global_wb scope:SCOPE_SE
	s_wait_dscnt 0x0
	s_barrier_signal -1
	s_barrier_wait -1
	global_inv scope:SCOPE_SE
	ds_load_b64 v[56:57], v135 offset:13056
	s_wait_dscnt 0x0
	v_mul_f32_e32 v58, v55, v56
	v_mul_f32_e32 v59, v55, v57
	s_delay_alu instid0(VALU_DEP_2) | instskip(NEXT) | instid1(VALU_DEP_2)
	v_fma_f32 v58, v54, v57, -v58
	v_fmac_f32_e32 v59, v54, v56
	ds_load_2addr_b64 v[54:57], v70 offset0:148 offset1:250
	s_wait_dscnt 0x0
	v_mul_f32_e32 v82, v51, v55
	v_mul_f32_e32 v80, v53, v57
	;; [unrolled: 1-line block ×4, first 2 shown]
	s_delay_alu instid0(VALU_DEP_4) | instskip(NEXT) | instid1(VALU_DEP_4)
	v_fmac_f32_e32 v82, v50, v54
	v_fmac_f32_e32 v80, v52, v56
	s_delay_alu instid0(VALU_DEP_4) | instskip(NEXT) | instid1(VALU_DEP_4)
	v_fma_f32 v81, v52, v57, -v53
	v_fma_f32 v83, v50, v55, -v51
	ds_load_2addr_b64 v[50:53], v69 offset0:72 offset1:174
	s_wait_dscnt 0x0
	v_mul_f32_e32 v70, v49, v53
	v_mul_f32_e32 v49, v49, v52
	;; [unrolled: 1-line block ×3, first 2 shown]
	s_delay_alu instid0(VALU_DEP_3) | instskip(NEXT) | instid1(VALU_DEP_3)
	v_dual_mul_f32 v47, v47, v50 :: v_dual_fmac_f32 v70, v48, v52
	v_fma_f32 v69, v48, v53, -v49
	s_delay_alu instid0(VALU_DEP_3) | instskip(NEXT) | instid1(VALU_DEP_3)
	v_fmac_f32_e32 v125, v46, v50
	v_fma_f32 v122, v46, v51, -v47
	ds_load_2addr_b64 v[46:49], v68 offset0:124 offset1:226
	s_wait_dscnt 0x0
	v_mul_f32_e32 v129, v45, v49
	v_mul_f32_e32 v45, v45, v48
	;; [unrolled: 1-line block ×4, first 2 shown]
	s_delay_alu instid0(VALU_DEP_4) | instskip(NEXT) | instid1(VALU_DEP_4)
	v_fmac_f32_e32 v129, v44, v48
	v_fma_f32 v131, v44, v49, -v45
	s_delay_alu instid0(VALU_DEP_4) | instskip(NEXT) | instid1(VALU_DEP_4)
	v_fmac_f32_e32 v77, v42, v46
	v_fma_f32 v78, v42, v47, -v43
	ds_load_2addr_b64 v[42:45], v66 offset0:48 offset1:150
	s_wait_dscnt 0x0
	v_mul_f32_e32 v48, v41, v45
	v_mul_f32_e32 v41, v41, v44
	;; [unrolled: 1-line block ×3, first 2 shown]
	s_delay_alu instid0(VALU_DEP_3) | instskip(NEXT) | instid1(VALU_DEP_3)
	v_dual_mul_f32 v39, v39, v42 :: v_dual_fmac_f32 v48, v40, v44
	v_fma_f32 v50, v40, v45, -v41
	s_delay_alu instid0(VALU_DEP_3) | instskip(NEXT) | instid1(VALU_DEP_3)
	v_fmac_f32_e32 v49, v38, v42
	v_fma_f32 v51, v38, v43, -v39
	ds_load_2addr_b64 v[38:41], v65 offset0:100 offset1:202
	s_wait_dscnt 0x0
	v_mul_f32_e32 v79, v37, v41
	v_dual_mul_f32 v37, v37, v40 :: v_dual_mul_f32 v134, v35, v39
	v_mul_f32_e32 v35, v35, v38
	s_delay_alu instid0(VALU_DEP_3) | instskip(NEXT) | instid1(VALU_DEP_3)
	v_fmac_f32_e32 v79, v36, v40
	v_fma_f32 v121, v36, v41, -v37
	s_delay_alu instid0(VALU_DEP_4) | instskip(NEXT) | instid1(VALU_DEP_4)
	v_fmac_f32_e32 v134, v34, v38
	v_fma_f32 v133, v34, v39, -v35
	ds_load_2addr_b64 v[34:37], v64 offset0:152 offset1:254
	s_wait_dscnt 0x0
	v_mul_f32_e32 v132, v33, v37
	v_mul_f32_e32 v33, v33, v36
	;; [unrolled: 1-line block ×3, first 2 shown]
	s_delay_alu instid0(VALU_DEP_3) | instskip(NEXT) | instid1(VALU_DEP_3)
	v_dual_mul_f32 v31, v31, v34 :: v_dual_fmac_f32 v132, v32, v36
	v_fma_f32 v124, v32, v37, -v33
	s_delay_alu instid0(VALU_DEP_3) | instskip(NEXT) | instid1(VALU_DEP_3)
	v_fmac_f32_e32 v123, v30, v34
	v_fma_f32 v68, v30, v35, -v31
	ds_load_2addr_b64 v[30:33], v67 offset0:76 offset1:178
	s_wait_dscnt 0x0
	v_mul_f32_e32 v67, v29, v33
	v_mul_f32_e32 v29, v29, v32
	v_mul_f32_e32 v37, v27, v31
	v_mul_f32_e32 v27, v27, v30
	s_delay_alu instid0(VALU_DEP_4) | instskip(NEXT) | instid1(VALU_DEP_4)
	v_fmac_f32_e32 v67, v28, v32
	v_fma_f32 v47, v28, v33, -v29
	s_delay_alu instid0(VALU_DEP_4) | instskip(NEXT) | instid1(VALU_DEP_4)
	v_fmac_f32_e32 v37, v26, v30
	v_fma_f32 v36, v26, v31, -v27
	ds_load_2addr_b64 v[26:29], v135 offset1:102
	global_wb scope:SCOPE_SE
	s_wait_dscnt 0x0
	s_barrier_signal -1
	s_barrier_wait -1
	global_inv scope:SCOPE_SE
	v_mul_f32_e32 v30, v25, v28
	v_mul_f32_e32 v25, v25, v29
	s_delay_alu instid0(VALU_DEP_2) | instskip(NEXT) | instid1(VALU_DEP_1)
	v_fma_f32 v30, v24, v29, -v30
	v_dual_fmac_f32 v25, v24, v28 :: v_dual_sub_f32 v24, v30, v58
	s_delay_alu instid0(VALU_DEP_1) | instskip(SKIP_1) | instid1(VALU_DEP_3)
	v_add_f32_e32 v28, v25, v59
	v_add_f32_e32 v142, v27, v30
	v_mul_f32_e32 v32, 0xbf2c7751, v24
	v_mul_f32_e32 v29, 0xbeb8f4ab, v24
	;; [unrolled: 1-line block ×5, first 2 shown]
	v_fmamk_f32 v33, v28, 0x3f3d2fb0, v32
	v_fma_f32 v32, 0x3f3d2fb0, v28, -v32
	v_mul_f32_e32 v42, 0xbf4c4adb, v24
	v_mul_f32_e32 v43, 0xbf06c442, v24
	;; [unrolled: 1-line block ×3, first 2 shown]
	v_fmamk_f32 v31, v28, 0x3f6eb680, v29
	v_fma_f32 v29, 0x3f6eb680, v28, -v29
	v_fmamk_f32 v35, v28, 0x3ee437d1, v34
	v_fma_f32 v34, 0x3ee437d1, v28, -v34
	v_dual_fmamk_f32 v39, v28, 0x3dbcf732, v38 :: v_dual_add_f32 v76, v26, v32
	v_fma_f32 v38, 0x3dbcf732, v28, -v38
	v_fmamk_f32 v41, v28, 0xbe8c1d8e, v40
	v_fma_f32 v40, 0xbe8c1d8e, v28, -v40
	v_fmamk_f32 v44, v28, 0xbf1a4643, v42
	;; [unrolled: 2-line block ×3, first 2 shown]
	v_fma_f32 v84, 0xbf59a7d5, v28, -v43
	v_dual_fmamk_f32 v85, v28, 0xbf7ba420, v24 :: v_dual_add_f32 v72, v26, v39
	v_fma_f32 v24, 0xbf7ba420, v28, -v24
	v_dual_add_f32 v28, v30, v58 :: v_dual_sub_f32 v43, v25, v59
	s_delay_alu instid0(VALU_DEP_3) | instskip(SKIP_1) | instid1(VALU_DEP_4)
	v_add_f32_e32 v30, v26, v85
	v_add_f32_e32 v127, v26, v29
	;; [unrolled: 1-line block ×3, first 2 shown]
	s_delay_alu instid0(VALU_DEP_4)
	v_mul_f32_e32 v53, 0x3f3d2fb0, v28
	v_mul_f32_e32 v138, 0xbf7ba420, v28
	;; [unrolled: 1-line block ×5, first 2 shown]
	v_fmamk_f32 v54, v43, 0x3f2c7751, v53
	v_mul_f32_e32 v45, 0x3f6eb680, v28
	v_fmamk_f32 v62, v43, 0x3f7ee86f, v57
	v_fmac_f32_e32 v57, 0xbf7ee86f, v43
	v_mul_f32_e32 v55, 0x3ee437d1, v28
	v_mul_f32_e32 v130, 0xbf1a4643, v28
	v_add_f32_e32 v28, v27, v54
	v_add_f32_e32 v71, v27, v62
	;; [unrolled: 1-line block ×3, first 2 shown]
	v_fmamk_f32 v128, v43, 0x3f763a35, v86
	v_fmamk_f32 v140, v43, 0x3f06c442, v136
	v_dual_fmac_f32 v136, 0xbf06c442, v43 :: v_dual_add_f32 v25, v26, v25
	v_fmamk_f32 v139, v43, 0x3f4c4adb, v130
	v_fmamk_f32 v56, v43, 0x3f65296c, v55
	v_fmac_f32_e32 v86, 0xbf763a35, v43
	v_fmac_f32_e32 v130, 0xbf4c4adb, v43
	v_dual_add_f32 v24, v25, v37 :: v_dual_fmamk_f32 v141, v43, 0x3e3c28d5, v138
	s_delay_alu instid0(VALU_DEP_4) | instskip(NEXT) | instid1(VALU_DEP_4)
	v_add_f32_e32 v73, v27, v56
	v_add_f32_e32 v56, v27, v86
	v_fmamk_f32 v52, v43, 0x3eb8f4ab, v45
	s_delay_alu instid0(VALU_DEP_4) | instskip(SKIP_2) | instid1(VALU_DEP_4)
	v_add_f32_e32 v24, v24, v67
	v_dual_fmac_f32 v45, 0xbeb8f4ab, v43 :: v_dual_add_f32 v62, v27, v128
	v_fmac_f32_e32 v138, 0xbe3c28d5, v43
	v_add_f32_e32 v144, v27, v52
	s_delay_alu instid0(VALU_DEP_4) | instskip(NEXT) | instid1(VALU_DEP_4)
	v_add_f32_e32 v24, v24, v123
	v_dual_add_f32 v143, v26, v31 :: v_dual_add_f32 v126, v27, v45
	v_dual_add_f32 v45, v26, v44 :: v_dual_add_f32 v44, v27, v139
	s_delay_alu instid0(VALU_DEP_3) | instskip(SKIP_3) | instid1(VALU_DEP_4)
	v_dual_add_f32 v24, v24, v132 :: v_dual_fmac_f32 v53, 0xbf2c7751, v43
	v_add_f32_e32 v29, v26, v33
	v_fmac_f32_e32 v55, 0xbf65296c, v43
	v_add_f32_e32 v43, v26, v42
	v_add_f32_e32 v24, v24, v134
	;; [unrolled: 1-line block ×10, first 2 shown]
	v_sub_f32_e32 v39, v36, v81
	v_dual_add_f32 v24, v24, v49 :: v_dual_add_f32 v53, v26, v34
	v_add_f32_e32 v31, v27, v141
	s_delay_alu instid0(VALU_DEP_3) | instskip(NEXT) | instid1(VALU_DEP_3)
	v_dual_add_f32 v33, v27, v138 :: v_dual_mul_f32 v128, 0xbf2c7751, v39
	v_add_f32_e32 v24, v24, v48
	v_dual_add_f32 v35, v26, v84 :: v_dual_add_f32 v36, v36, v81
	v_add_f32_e32 v34, v27, v136
	v_sub_f32_e32 v142, v51, v50
	s_delay_alu instid0(VALU_DEP_4) | instskip(SKIP_2) | instid1(VALU_DEP_3)
	v_dual_add_f32 v24, v24, v77 :: v_dual_add_f32 v55, v26, v38
	v_add_f32_e32 v38, v37, v80
	v_mul_f32_e32 v130, 0x3f3d2fb0, v36
	v_dual_sub_f32 v37, v37, v80 :: v_dual_add_f32 v24, v24, v129
	v_mul_f32_e32 v136, 0x3eb8f4ab, v142
	s_delay_alu instid0(VALU_DEP_2) | instskip(SKIP_1) | instid1(VALU_DEP_2)
	v_dual_fmamk_f32 v27, v37, 0x3f2c7751, v130 :: v_dual_add_f32 v24, v24, v125
	v_add_f32_e32 v63, v26, v41
	v_dual_add_f32 v27, v27, v144 :: v_dual_add_f32 v24, v24, v70
	v_add_f32_e32 v144, v51, v50
	s_delay_alu instid0(VALU_DEP_2) | instskip(NEXT) | instid1(VALU_DEP_1)
	v_add_f32_e32 v24, v24, v82
	v_dual_add_f32 v24, v24, v80 :: v_dual_add_f32 v41, v26, v46
	v_sub_f32_e32 v46, v47, v83
	v_dual_add_f32 v25, v25, v47 :: v_dual_fmamk_f32 v26, v38, 0x3f3d2fb0, v128
	v_add_f32_e32 v47, v47, v83
	s_delay_alu instid0(VALU_DEP_4) | instskip(NEXT) | instid1(VALU_DEP_3)
	v_add_f32_e32 v24, v24, v59
	v_dual_mul_f32 v138, 0xbf65296c, v46 :: v_dual_add_f32 v25, v25, v68
	s_delay_alu instid0(VALU_DEP_4) | instskip(NEXT) | instid1(VALU_DEP_4)
	v_dual_add_f32 v26, v26, v143 :: v_dual_sub_f32 v59, v67, v82
	v_mul_f32_e32 v139, 0x3ee437d1, v47
	s_delay_alu instid0(VALU_DEP_3) | instskip(NEXT) | instid1(VALU_DEP_1)
	v_add_f32_e32 v25, v25, v124
	v_add_f32_e32 v25, v25, v133
	s_delay_alu instid0(VALU_DEP_1) | instskip(NEXT) | instid1(VALU_DEP_1)
	v_add_f32_e32 v25, v25, v121
	v_add_f32_e32 v25, v25, v51
	s_delay_alu instid0(VALU_DEP_1) | instskip(NEXT) | instid1(VALU_DEP_1)
	;; [unrolled: 3-line block ×5, first 2 shown]
	v_add_f32_e32 v25, v25, v81
	v_add_f32_e32 v25, v25, v58
	;; [unrolled: 1-line block ×3, first 2 shown]
	s_delay_alu instid0(VALU_DEP_1) | instskip(SKIP_2) | instid1(VALU_DEP_3)
	v_fmamk_f32 v67, v58, 0x3ee437d1, v138
	v_fma_f32 v86, 0x3ee437d1, v58, -v138
	v_mul_f32_e32 v138, 0x3f6eb680, v144
	v_add_f32_e32 v26, v67, v26
	v_fmamk_f32 v67, v59, 0x3f65296c, v139
	s_delay_alu instid0(VALU_DEP_1) | instskip(SKIP_3) | instid1(VALU_DEP_3)
	v_add_f32_e32 v27, v67, v27
	v_sub_f32_e32 v67, v68, v69
	v_dual_add_f32 v68, v68, v69 :: v_dual_add_f32 v69, v123, v70
	v_dual_sub_f32 v70, v123, v70 :: v_dual_sub_f32 v143, v49, v48
	v_mul_f32_e32 v140, 0xbf7ee86f, v67
	s_delay_alu instid0(VALU_DEP_3)
	v_mul_f32_e32 v141, 0x3dbcf732, v68
	v_sub_f32_e32 v123, v124, v122
	v_add_f32_e32 v122, v124, v122
	v_add_f32_e32 v124, v132, v125
	v_dual_fmamk_f32 v80, v69, 0x3dbcf732, v140 :: v_dual_sub_f32 v125, v132, v125
	v_sub_f32_e32 v132, v133, v131
	v_add_f32_e32 v131, v133, v131
	s_delay_alu instid0(VALU_DEP_3) | instskip(SKIP_3) | instid1(VALU_DEP_3)
	v_dual_add_f32 v133, v134, v129 :: v_dual_add_f32 v26, v80, v26
	v_fmamk_f32 v80, v70, 0x3f7ee86f, v141
	v_dual_sub_f32 v129, v134, v129 :: v_dual_sub_f32 v134, v121, v78
	v_dual_add_f32 v78, v121, v78 :: v_dual_add_f32 v121, v79, v77
	v_add_f32_e32 v27, v80, v27
	v_dual_mul_f32 v80, 0xbf763a35, v123 :: v_dual_sub_f32 v77, v79, v77
	s_delay_alu instid0(VALU_DEP_3) | instskip(SKIP_2) | instid1(VALU_DEP_4)
	v_mul_f32_e32 v85, 0xbf59a7d5, v78
	v_fmac_f32_e32 v139, 0xbf65296c, v59
	v_fmac_f32_e32 v141, 0xbf7ee86f, v70
	v_fmamk_f32 v81, v124, 0xbe8c1d8e, v80
	v_fma_f32 v80, 0xbe8c1d8e, v124, -v80
	s_delay_alu instid0(VALU_DEP_2) | instskip(SKIP_1) | instid1(VALU_DEP_1)
	v_add_f32_e32 v26, v81, v26
	v_mul_f32_e32 v81, 0xbe8c1d8e, v122
	v_fmamk_f32 v82, v125, 0x3f763a35, v81
	v_fmac_f32_e32 v81, 0xbf763a35, v125
	s_delay_alu instid0(VALU_DEP_2) | instskip(NEXT) | instid1(VALU_DEP_1)
	v_dual_add_f32 v27, v82, v27 :: v_dual_mul_f32 v82, 0xbf4c4adb, v132
	v_fmamk_f32 v83, v133, 0xbf1a4643, v82
	s_delay_alu instid0(VALU_DEP_1) | instskip(SKIP_2) | instid1(VALU_DEP_1)
	v_add_f32_e32 v26, v83, v26
	v_fmac_f32_e32 v130, 0xbf2c7751, v37
	v_mul_f32_e32 v83, 0xbf1a4643, v131
	v_dual_add_f32 v51, v130, v126 :: v_dual_fmamk_f32 v84, v129, 0x3f4c4adb, v83
	s_delay_alu instid0(VALU_DEP_1) | instskip(NEXT) | instid1(VALU_DEP_2)
	v_add_f32_e32 v51, v139, v51
	v_dual_add_f32 v27, v84, v27 :: v_dual_mul_f32 v84, 0xbf06c442, v134
	s_delay_alu instid0(VALU_DEP_2) | instskip(NEXT) | instid1(VALU_DEP_2)
	v_add_f32_e32 v51, v141, v51
	v_fmamk_f32 v79, v121, 0xbf59a7d5, v84
	s_delay_alu instid0(VALU_DEP_1) | instskip(SKIP_1) | instid1(VALU_DEP_1)
	v_dual_add_f32 v51, v81, v51 :: v_dual_add_f32 v26, v79, v26
	v_fmamk_f32 v79, v77, 0x3f06c442, v85
	v_add_f32_e32 v27, v79, v27
	v_dual_add_f32 v79, v49, v48 :: v_dual_mul_f32 v48, 0xbe3c28d5, v142
	s_delay_alu instid0(VALU_DEP_1) | instskip(SKIP_1) | instid1(VALU_DEP_2)
	v_fmamk_f32 v49, v79, 0xbf7ba420, v48
	v_fma_f32 v48, 0xbf7ba420, v79, -v48
	v_dual_add_f32 v26, v49, v26 :: v_dual_mul_f32 v49, 0xbf7ba420, v144
	s_delay_alu instid0(VALU_DEP_1) | instskip(SKIP_1) | instid1(VALU_DEP_2)
	v_fmamk_f32 v50, v143, 0x3e3c28d5, v49
	v_fmac_f32_e32 v49, 0xbe3c28d5, v143
	v_add_f32_e32 v27, v50, v27
	v_fma_f32 v50, 0x3f3d2fb0, v38, -v128
	s_delay_alu instid0(VALU_DEP_1) | instskip(NEXT) | instid1(VALU_DEP_1)
	v_add_f32_e32 v50, v50, v127
	v_add_f32_e32 v50, v86, v50
	v_fma_f32 v86, 0x3dbcf732, v69, -v140
	s_delay_alu instid0(VALU_DEP_1) | instskip(NEXT) | instid1(VALU_DEP_1)
	v_add_f32_e32 v50, v86, v50
	v_add_f32_e32 v50, v80, v50
	v_fma_f32 v80, 0xbf1a4643, v133, -v82
	s_delay_alu instid0(VALU_DEP_1) | instskip(SKIP_1) | instid1(VALU_DEP_1)
	v_add_f32_e32 v50, v80, v50
	v_fma_f32 v80, 0xbf59a7d5, v121, -v84
	v_dual_add_f32 v50, v80, v50 :: v_dual_fmac_f32 v83, 0xbf4c4adb, v129
	s_delay_alu instid0(VALU_DEP_1) | instskip(SKIP_2) | instid1(VALU_DEP_1)
	v_dual_add_f32 v48, v48, v50 :: v_dual_add_f32 v51, v83, v51
	v_mul_f32_e32 v50, 0xbf7ee86f, v39
	v_fmac_f32_e32 v85, 0xbf06c442, v77
	v_add_f32_e32 v51, v85, v51
	s_delay_alu instid0(VALU_DEP_1) | instskip(NEXT) | instid1(VALU_DEP_4)
	v_add_f32_e32 v49, v49, v51
	v_fmamk_f32 v51, v38, 0x3dbcf732, v50
	v_fma_f32 v50, 0x3dbcf732, v38, -v50
	s_delay_alu instid0(VALU_DEP_2) | instskip(SKIP_1) | instid1(VALU_DEP_3)
	v_add_f32_e32 v29, v51, v29
	v_mul_f32_e32 v51, 0x3dbcf732, v36
	v_add_f32_e32 v50, v50, v76
	s_delay_alu instid0(VALU_DEP_2) | instskip(NEXT) | instid1(VALU_DEP_1)
	v_fmamk_f32 v80, v37, 0x3f7ee86f, v51
	v_dual_fmac_f32 v51, 0xbf7ee86f, v37 :: v_dual_add_f32 v28, v80, v28
	s_delay_alu instid0(VALU_DEP_1) | instskip(NEXT) | instid1(VALU_DEP_1)
	v_dual_mul_f32 v80, 0xbf4c4adb, v46 :: v_dual_add_f32 v51, v51, v75
	v_fmamk_f32 v81, v58, 0xbf1a4643, v80
	v_fma_f32 v75, 0xbf1a4643, v58, -v80
	s_delay_alu instid0(VALU_DEP_2) | instskip(NEXT) | instid1(VALU_DEP_2)
	v_add_f32_e32 v29, v81, v29
	v_dual_mul_f32 v81, 0xbf1a4643, v47 :: v_dual_add_f32 v50, v75, v50
	s_delay_alu instid0(VALU_DEP_1) | instskip(NEXT) | instid1(VALU_DEP_1)
	v_fmamk_f32 v82, v59, 0x3f4c4adb, v81
	v_add_f32_e32 v28, v82, v28
	v_mul_f32_e32 v82, 0xbe3c28d5, v67
	s_delay_alu instid0(VALU_DEP_1) | instskip(SKIP_1) | instid1(VALU_DEP_2)
	v_fmamk_f32 v83, v69, 0xbf7ba420, v82
	v_fma_f32 v75, 0xbf7ba420, v69, -v82
	v_add_f32_e32 v29, v83, v29
	s_delay_alu instid0(VALU_DEP_2) | instskip(NEXT) | instid1(VALU_DEP_1)
	v_dual_mul_f32 v83, 0xbf7ba420, v68 :: v_dual_add_f32 v50, v75, v50
	v_fmamk_f32 v84, v70, 0x3e3c28d5, v83
	s_delay_alu instid0(VALU_DEP_1) | instskip(SKIP_1) | instid1(VALU_DEP_1)
	v_add_f32_e32 v28, v84, v28
	v_mul_f32_e32 v84, 0x3f06c442, v123
	v_fmamk_f32 v85, v124, 0xbf59a7d5, v84
	v_fma_f32 v75, 0xbf59a7d5, v124, -v84
	s_delay_alu instid0(VALU_DEP_2) | instskip(SKIP_1) | instid1(VALU_DEP_3)
	v_add_f32_e32 v29, v85, v29
	v_mul_f32_e32 v85, 0xbf59a7d5, v122
	v_add_f32_e32 v50, v75, v50
	s_delay_alu instid0(VALU_DEP_2) | instskip(NEXT) | instid1(VALU_DEP_1)
	v_fmamk_f32 v86, v125, 0xbf06c442, v85
	v_dual_fmac_f32 v85, 0x3f06c442, v125 :: v_dual_add_f32 v28, v86, v28
	v_mul_f32_e32 v86, 0x3f763a35, v132
	s_delay_alu instid0(VALU_DEP_1) | instskip(SKIP_1) | instid1(VALU_DEP_2)
	v_fmamk_f32 v126, v133, 0xbe8c1d8e, v86
	v_fma_f32 v75, 0xbe8c1d8e, v133, -v86
	v_dual_add_f32 v29, v126, v29 :: v_dual_mul_f32 v126, 0xbe8c1d8e, v131
	s_delay_alu instid0(VALU_DEP_1) | instskip(SKIP_1) | instid1(VALU_DEP_2)
	v_dual_add_f32 v50, v75, v50 :: v_dual_fmamk_f32 v127, v129, 0xbf763a35, v126
	v_fmac_f32_e32 v126, 0x3f763a35, v129
	v_dual_add_f32 v28, v127, v28 :: v_dual_mul_f32 v127, 0x3f65296c, v134
	s_delay_alu instid0(VALU_DEP_1) | instskip(NEXT) | instid1(VALU_DEP_1)
	v_fmamk_f32 v128, v121, 0x3ee437d1, v127
	v_dual_add_f32 v29, v128, v29 :: v_dual_mul_f32 v128, 0x3ee437d1, v78
	s_delay_alu instid0(VALU_DEP_1) | instskip(SKIP_2) | instid1(VALU_DEP_3)
	v_fmamk_f32 v130, v77, 0xbf65296c, v128
	v_fmac_f32_e32 v128, 0x3f65296c, v77
	v_fma_f32 v75, 0x3ee437d1, v121, -v127
	v_add_f32_e32 v130, v130, v28
	v_fmamk_f32 v28, v79, 0x3f6eb680, v136
	s_delay_alu instid0(VALU_DEP_3) | instskip(SKIP_2) | instid1(VALU_DEP_2)
	v_add_f32_e32 v50, v75, v50
	v_fma_f32 v75, 0x3f6eb680, v79, -v136
	v_mul_f32_e32 v136, 0xbf06c442, v142
	v_dual_add_f32 v50, v75, v50 :: v_dual_mul_f32 v75, 0xbf4c4adb, v39
	s_delay_alu instid0(VALU_DEP_1) | instskip(NEXT) | instid1(VALU_DEP_1)
	v_fmamk_f32 v76, v38, 0xbf1a4643, v75
	v_dual_fmac_f32 v81, 0xbf4c4adb, v59 :: v_dual_add_f32 v74, v76, v74
	v_mul_f32_e32 v76, 0xbf1a4643, v36
	s_delay_alu instid0(VALU_DEP_1) | instskip(SKIP_2) | instid1(VALU_DEP_3)
	v_fmamk_f32 v80, v37, 0x3f4c4adb, v76
	v_fmac_f32_e32 v76, 0xbf4c4adb, v37
	v_add_f32_e32 v28, v28, v29
	v_dual_add_f32 v73, v80, v73 :: v_dual_mul_f32 v80, 0x3e3c28d5, v46
	s_delay_alu instid0(VALU_DEP_3) | instskip(NEXT) | instid1(VALU_DEP_2)
	v_dual_add_f32 v51, v81, v51 :: v_dual_add_f32 v52, v76, v52
	v_fmamk_f32 v81, v58, 0xbf7ba420, v80
	s_delay_alu instid0(VALU_DEP_1) | instskip(SKIP_1) | instid1(VALU_DEP_2)
	v_dual_add_f32 v74, v81, v74 :: v_dual_mul_f32 v81, 0xbf7ba420, v47
	v_fmac_f32_e32 v83, 0xbe3c28d5, v70
	v_fmamk_f32 v82, v59, 0xbe3c28d5, v81
	s_delay_alu instid0(VALU_DEP_2) | instskip(SKIP_1) | instid1(VALU_DEP_3)
	v_add_f32_e32 v51, v83, v51
	v_fmac_f32_e32 v81, 0x3e3c28d5, v59
	v_dual_add_f32 v73, v82, v73 :: v_dual_mul_f32 v82, 0x3f763a35, v67
	s_delay_alu instid0(VALU_DEP_3) | instskip(NEXT) | instid1(VALU_DEP_3)
	v_add_f32_e32 v51, v85, v51
	v_add_f32_e32 v52, v81, v52
	s_delay_alu instid0(VALU_DEP_3) | instskip(NEXT) | instid1(VALU_DEP_1)
	v_fmamk_f32 v83, v69, 0xbe8c1d8e, v82
	v_dual_add_f32 v74, v83, v74 :: v_dual_mul_f32 v83, 0xbe8c1d8e, v68
	s_delay_alu instid0(VALU_DEP_1) | instskip(SKIP_1) | instid1(VALU_DEP_2)
	v_fmamk_f32 v84, v70, 0xbf763a35, v83
	v_fmac_f32_e32 v83, 0x3f763a35, v70
	v_dual_add_f32 v73, v84, v73 :: v_dual_mul_f32 v84, 0x3f2c7751, v123
	s_delay_alu instid0(VALU_DEP_1) | instskip(SKIP_2) | instid1(VALU_DEP_3)
	v_dual_add_f32 v52, v83, v52 :: v_dual_fmamk_f32 v85, v124, 0x3f3d2fb0, v84
	v_fmamk_f32 v29, v143, 0xbeb8f4ab, v138
	v_fmac_f32_e32 v138, 0x3eb8f4ab, v143
	v_add_f32_e32 v74, v85, v74
	v_mul_f32_e32 v85, 0x3f3d2fb0, v122
	s_delay_alu instid0(VALU_DEP_4) | instskip(NEXT) | instid1(VALU_DEP_2)
	v_add_f32_e32 v29, v29, v130
	v_fmamk_f32 v86, v125, 0xbf2c7751, v85
	v_fmac_f32_e32 v85, 0x3f2c7751, v125
	s_delay_alu instid0(VALU_DEP_2) | instskip(NEXT) | instid1(VALU_DEP_2)
	v_dual_add_f32 v73, v86, v73 :: v_dual_mul_f32 v86, 0xbeb8f4ab, v132
	v_dual_add_f32 v51, v126, v51 :: v_dual_add_f32 v52, v85, v52
	s_delay_alu instid0(VALU_DEP_2) | instskip(NEXT) | instid1(VALU_DEP_1)
	v_fmamk_f32 v126, v133, 0x3f6eb680, v86
	v_add_f32_e32 v74, v126, v74
	v_mul_f32_e32 v126, 0x3f6eb680, v131
	s_delay_alu instid0(VALU_DEP_1) | instskip(SKIP_1) | instid1(VALU_DEP_2)
	v_fmamk_f32 v127, v129, 0x3eb8f4ab, v126
	v_fmac_f32_e32 v126, 0xbeb8f4ab, v129
	v_add_f32_e32 v73, v127, v73
	v_mul_f32_e32 v127, 0xbf7ee86f, v134
	s_delay_alu instid0(VALU_DEP_3) | instskip(NEXT) | instid1(VALU_DEP_1)
	v_dual_add_f32 v51, v128, v51 :: v_dual_add_f32 v52, v126, v52
	v_dual_fmamk_f32 v128, v121, 0x3dbcf732, v127 :: v_dual_add_f32 v51, v138, v51
	v_mul_f32_e32 v138, 0xbf59a7d5, v144
	s_delay_alu instid0(VALU_DEP_2) | instskip(SKIP_1) | instid1(VALU_DEP_1)
	v_add_f32_e32 v74, v128, v74
	v_mul_f32_e32 v128, 0x3dbcf732, v78
	v_fmamk_f32 v130, v77, 0x3f7ee86f, v128
	v_fmac_f32_e32 v128, 0xbf7ee86f, v77
	s_delay_alu instid0(VALU_DEP_2) | instskip(NEXT) | instid1(VALU_DEP_1)
	v_dual_add_f32 v130, v130, v73 :: v_dual_fmamk_f32 v73, v79, 0xbf59a7d5, v136
	v_dual_add_f32 v73, v73, v74 :: v_dual_fmamk_f32 v74, v143, 0x3f06c442, v138
	v_fmac_f32_e32 v138, 0xbf06c442, v143
	s_delay_alu instid0(VALU_DEP_2) | instskip(SKIP_1) | instid1(VALU_DEP_1)
	v_add_f32_e32 v74, v74, v130
	v_fma_f32 v75, 0xbf1a4643, v38, -v75
	v_add_f32_e32 v53, v75, v53
	v_fma_f32 v75, 0xbf7ba420, v58, -v80
	s_delay_alu instid0(VALU_DEP_1) | instskip(SKIP_1) | instid1(VALU_DEP_1)
	v_add_f32_e32 v53, v75, v53
	v_fma_f32 v75, 0xbe8c1d8e, v69, -v82
	v_add_f32_e32 v53, v75, v53
	v_fma_f32 v75, 0x3f3d2fb0, v124, -v84
	s_delay_alu instid0(VALU_DEP_1) | instskip(SKIP_1) | instid1(VALU_DEP_1)
	v_add_f32_e32 v53, v75, v53
	v_fma_f32 v75, 0x3f6eb680, v133, -v86
	v_add_f32_e32 v53, v75, v53
	v_fma_f32 v75, 0x3dbcf732, v121, -v127
	s_delay_alu instid0(VALU_DEP_1) | instskip(SKIP_2) | instid1(VALU_DEP_1)
	v_add_f32_e32 v53, v75, v53
	v_add_f32_e32 v75, v128, v52
	v_fma_f32 v52, 0xbf59a7d5, v79, -v136
	v_dual_add_f32 v52, v52, v53 :: v_dual_add_f32 v53, v138, v75
	v_mul_f32_e32 v75, 0xbe3c28d5, v39
	v_mul_f32_e32 v138, 0x3f3d2fb0, v144
	s_delay_alu instid0(VALU_DEP_2) | instskip(NEXT) | instid1(VALU_DEP_1)
	v_fmamk_f32 v76, v38, 0xbf7ba420, v75
	v_add_f32_e32 v72, v76, v72
	v_mul_f32_e32 v76, 0xbf7ba420, v36
	s_delay_alu instid0(VALU_DEP_1) | instskip(NEXT) | instid1(VALU_DEP_1)
	v_fmamk_f32 v80, v37, 0x3e3c28d5, v76
	v_dual_fmac_f32 v76, 0xbe3c28d5, v37 :: v_dual_add_f32 v71, v80, v71
	v_mul_f32_e32 v80, 0x3f763a35, v46
	s_delay_alu instid0(VALU_DEP_1) | instskip(NEXT) | instid1(VALU_DEP_1)
	v_fmamk_f32 v81, v58, 0xbe8c1d8e, v80
	v_dual_add_f32 v72, v81, v72 :: v_dual_mul_f32 v81, 0xbe8c1d8e, v47
	s_delay_alu instid0(VALU_DEP_4) | instskip(NEXT) | instid1(VALU_DEP_2)
	v_add_f32_e32 v54, v76, v54
	v_fmamk_f32 v82, v59, 0xbf763a35, v81
	s_delay_alu instid0(VALU_DEP_1) | instskip(SKIP_1) | instid1(VALU_DEP_1)
	v_add_f32_e32 v71, v82, v71
	v_mul_f32_e32 v82, 0x3eb8f4ab, v67
	v_fmamk_f32 v83, v69, 0x3f6eb680, v82
	s_delay_alu instid0(VALU_DEP_1) | instskip(SKIP_1) | instid1(VALU_DEP_1)
	v_add_f32_e32 v72, v83, v72
	v_mul_f32_e32 v83, 0x3f6eb680, v68
	;; [unrolled: 4-line block ×3, first 2 shown]
	v_fmamk_f32 v85, v124, 0x3ee437d1, v84
	s_delay_alu instid0(VALU_DEP_1) | instskip(SKIP_1) | instid1(VALU_DEP_1)
	v_dual_add_f32 v72, v85, v72 :: v_dual_mul_f32 v85, 0x3ee437d1, v122
	v_fma_f32 v75, 0xbf7ba420, v38, -v75
	v_dual_fmamk_f32 v86, v125, 0x3f65296c, v85 :: v_dual_add_f32 v55, v75, v55
	v_fma_f32 v75, 0xbe8c1d8e, v58, -v80
	s_delay_alu instid0(VALU_DEP_2) | instskip(NEXT) | instid1(VALU_DEP_2)
	v_dual_mul_f32 v136, 0x3f2c7751, v142 :: v_dual_add_f32 v71, v86, v71
	v_dual_mul_f32 v86, 0xbf06c442, v132 :: v_dual_add_f32 v55, v75, v55
	v_fma_f32 v75, 0x3f6eb680, v69, -v82
	s_delay_alu instid0(VALU_DEP_1) | instskip(SKIP_1) | instid1(VALU_DEP_2)
	v_dual_fmamk_f32 v126, v133, 0xbf59a7d5, v86 :: v_dual_add_f32 v55, v75, v55
	v_fma_f32 v75, 0x3ee437d1, v124, -v84
	v_add_f32_e32 v72, v126, v72
	v_mul_f32_e32 v126, 0xbf59a7d5, v131
	v_fmac_f32_e32 v81, 0x3f763a35, v59
	s_delay_alu instid0(VALU_DEP_1) | instskip(NEXT) | instid1(VALU_DEP_3)
	v_add_f32_e32 v54, v81, v54
	v_fmamk_f32 v127, v129, 0x3f06c442, v126
	s_delay_alu instid0(VALU_DEP_1) | instskip(SKIP_1) | instid1(VALU_DEP_1)
	v_add_f32_e32 v71, v127, v71
	v_mul_f32_e32 v127, 0x3f4c4adb, v134
	v_fmamk_f32 v128, v121, 0xbf1a4643, v127
	s_delay_alu instid0(VALU_DEP_1) | instskip(SKIP_1) | instid1(VALU_DEP_1)
	v_add_f32_e32 v72, v128, v72
	v_mul_f32_e32 v128, 0xbf1a4643, v78
	v_fmamk_f32 v130, v77, 0xbf4c4adb, v128
	v_fmac_f32_e32 v128, 0x3f4c4adb, v77
	s_delay_alu instid0(VALU_DEP_2) | instskip(NEXT) | instid1(VALU_DEP_1)
	v_dual_add_f32 v130, v130, v71 :: v_dual_fmamk_f32 v71, v79, 0x3f3d2fb0, v136
	v_add_f32_e32 v71, v71, v72
	v_fmamk_f32 v72, v143, 0xbf2c7751, v138
	v_fmac_f32_e32 v126, 0xbf06c442, v129
	v_fmac_f32_e32 v85, 0xbf65296c, v125
	;; [unrolled: 1-line block ×3, first 2 shown]
	s_delay_alu instid0(VALU_DEP_4) | instskip(SKIP_1) | instid1(VALU_DEP_1)
	v_add_f32_e32 v72, v72, v130
	v_fmac_f32_e32 v83, 0x3eb8f4ab, v70
	v_add_f32_e32 v54, v83, v54
	v_add_f32_e32 v55, v75, v55
	v_fma_f32 v75, 0xbf59a7d5, v133, -v86
	s_delay_alu instid0(VALU_DEP_1) | instskip(SKIP_1) | instid1(VALU_DEP_1)
	v_dual_add_f32 v54, v85, v54 :: v_dual_add_f32 v55, v75, v55
	v_fma_f32 v75, 0xbf1a4643, v121, -v127
	v_dual_add_f32 v55, v75, v55 :: v_dual_add_f32 v54, v126, v54
	s_delay_alu instid0(VALU_DEP_1) | instskip(SKIP_1) | instid1(VALU_DEP_1)
	v_add_f32_e32 v75, v128, v54
	v_fma_f32 v54, 0x3f3d2fb0, v79, -v136
	v_add_f32_e32 v54, v54, v55
	s_delay_alu instid0(VALU_DEP_3) | instskip(SKIP_2) | instid1(VALU_DEP_2)
	v_add_f32_e32 v55, v138, v75
	v_mul_f32_e32 v75, 0x3f06c442, v39
	v_mul_f32_e32 v138, 0xbf1a4643, v144
	v_fmamk_f32 v76, v38, 0xbf59a7d5, v75
	s_delay_alu instid0(VALU_DEP_1) | instskip(NEXT) | instid1(VALU_DEP_1)
	v_dual_add_f32 v63, v76, v63 :: v_dual_mul_f32 v76, 0xbf59a7d5, v36
	v_fmamk_f32 v80, v37, 0xbf06c442, v76
	v_fmac_f32_e32 v76, 0x3f06c442, v37
	s_delay_alu instid0(VALU_DEP_2) | instskip(SKIP_2) | instid1(VALU_DEP_2)
	v_add_f32_e32 v62, v80, v62
	v_mul_f32_e32 v80, 0x3f2c7751, v46
	v_fma_f32 v75, 0xbf59a7d5, v38, -v75
	v_dual_add_f32 v56, v76, v56 :: v_dual_fmamk_f32 v81, v58, 0x3f3d2fb0, v80
	s_delay_alu instid0(VALU_DEP_2) | instskip(NEXT) | instid1(VALU_DEP_2)
	v_add_f32_e32 v57, v75, v57
	v_add_f32_e32 v63, v81, v63
	v_mul_f32_e32 v81, 0x3f3d2fb0, v47
	v_fma_f32 v75, 0x3f3d2fb0, v58, -v80
	s_delay_alu instid0(VALU_DEP_2) | instskip(NEXT) | instid1(VALU_DEP_1)
	v_fmamk_f32 v82, v59, 0xbf2c7751, v81
	v_dual_add_f32 v57, v75, v57 :: v_dual_add_f32 v62, v82, v62
	v_mul_f32_e32 v82, 0xbf65296c, v67
	s_delay_alu instid0(VALU_DEP_1) | instskip(SKIP_1) | instid1(VALU_DEP_2)
	v_fmamk_f32 v83, v69, 0x3ee437d1, v82
	v_fma_f32 v75, 0x3ee437d1, v69, -v82
	v_add_f32_e32 v63, v83, v63
	v_mul_f32_e32 v83, 0x3ee437d1, v68
	s_delay_alu instid0(VALU_DEP_1) | instskip(NEXT) | instid1(VALU_DEP_1)
	v_dual_add_f32 v57, v75, v57 :: v_dual_fmamk_f32 v84, v70, 0x3f65296c, v83
	v_add_f32_e32 v62, v84, v62
	v_mul_f32_e32 v84, 0xbe3c28d5, v123
	s_delay_alu instid0(VALU_DEP_1) | instskip(SKIP_1) | instid1(VALU_DEP_2)
	v_fmamk_f32 v85, v124, 0xbf7ba420, v84
	v_fma_f32 v75, 0xbf7ba420, v124, -v84
	v_add_f32_e32 v63, v85, v63
	v_mul_f32_e32 v85, 0xbf7ba420, v122
	s_delay_alu instid0(VALU_DEP_1) | instskip(NEXT) | instid1(VALU_DEP_1)
	v_dual_add_f32 v57, v75, v57 :: v_dual_fmamk_f32 v86, v125, 0x3e3c28d5, v85
	v_add_f32_e32 v62, v86, v62
	v_mul_f32_e32 v86, 0x3f7ee86f, v132
	s_delay_alu instid0(VALU_DEP_1) | instskip(NEXT) | instid1(VALU_DEP_1)
	v_fmamk_f32 v126, v133, 0x3dbcf732, v86
	v_add_f32_e32 v63, v126, v63
	v_mul_f32_e32 v126, 0x3dbcf732, v131
	s_delay_alu instid0(VALU_DEP_1) | instskip(SKIP_1) | instid1(VALU_DEP_2)
	v_fmamk_f32 v127, v129, 0xbf7ee86f, v126
	v_fmac_f32_e32 v126, 0x3f7ee86f, v129
	v_add_f32_e32 v62, v127, v62
	v_fmac_f32_e32 v83, 0xbf65296c, v70
	v_fmac_f32_e32 v81, 0x3f2c7751, v59
	s_delay_alu instid0(VALU_DEP_1) | instskip(NEXT) | instid1(VALU_DEP_1)
	v_dual_mul_f32 v127, 0xbeb8f4ab, v134 :: v_dual_add_f32 v56, v81, v56
	v_fmamk_f32 v128, v121, 0x3f6eb680, v127
	s_delay_alu instid0(VALU_DEP_1) | instskip(SKIP_1) | instid1(VALU_DEP_1)
	v_dual_add_f32 v56, v83, v56 :: v_dual_add_f32 v63, v128, v63
	v_fma_f32 v75, 0x3dbcf732, v133, -v86
	v_add_f32_e32 v57, v75, v57
	v_fma_f32 v75, 0x3f6eb680, v121, -v127
	s_delay_alu instid0(VALU_DEP_1) | instskip(NEXT) | instid1(VALU_DEP_1)
	v_dual_mul_f32 v128, 0x3f6eb680, v78 :: v_dual_add_f32 v57, v75, v57
	v_fmamk_f32 v130, v77, 0x3eb8f4ab, v128
	v_fmac_f32_e32 v128, 0xbeb8f4ab, v77
	v_mul_f32_e32 v136, 0xbf4c4adb, v142
	s_delay_alu instid0(VALU_DEP_3) | instskip(NEXT) | instid1(VALU_DEP_2)
	v_add_f32_e32 v130, v130, v62
	v_fmamk_f32 v62, v79, 0xbf1a4643, v136
	s_delay_alu instid0(VALU_DEP_1) | instskip(SKIP_2) | instid1(VALU_DEP_2)
	v_dual_add_f32 v62, v62, v63 :: v_dual_fmac_f32 v85, 0xbe3c28d5, v125
	v_fmamk_f32 v63, v143, 0x3f4c4adb, v138
	v_fmac_f32_e32 v138, 0xbf4c4adb, v143
	v_dual_add_f32 v56, v85, v56 :: v_dual_add_f32 v63, v63, v130
	s_delay_alu instid0(VALU_DEP_1) | instskip(NEXT) | instid1(VALU_DEP_1)
	v_add_f32_e32 v56, v126, v56
	v_add_f32_e32 v75, v128, v56
	v_fma_f32 v56, 0xbf1a4643, v79, -v136
	v_mul_f32_e32 v136, 0x3f65296c, v142
	s_delay_alu instid0(VALU_DEP_2) | instskip(SKIP_2) | instid1(VALU_DEP_2)
	v_dual_add_f32 v56, v56, v57 :: v_dual_add_f32 v57, v138, v75
	v_mul_f32_e32 v75, 0x3f763a35, v39
	v_mul_f32_e32 v138, 0x3ee437d1, v144
	v_fmamk_f32 v76, v38, 0xbe8c1d8e, v75
	v_fma_f32 v75, 0xbe8c1d8e, v38, -v75
	s_delay_alu instid0(VALU_DEP_2) | instskip(NEXT) | instid1(VALU_DEP_1)
	v_dual_add_f32 v45, v76, v45 :: v_dual_mul_f32 v76, 0xbe8c1d8e, v36
	v_dual_add_f32 v43, v75, v43 :: v_dual_fmamk_f32 v80, v37, 0xbf763a35, v76
	s_delay_alu instid0(VALU_DEP_1) | instskip(SKIP_1) | instid1(VALU_DEP_1)
	v_add_f32_e32 v44, v80, v44
	v_mul_f32_e32 v80, 0xbeb8f4ab, v46
	v_fmamk_f32 v81, v58, 0x3f6eb680, v80
	s_delay_alu instid0(VALU_DEP_1) | instskip(SKIP_1) | instid1(VALU_DEP_1)
	v_add_f32_e32 v45, v81, v45
	v_mul_f32_e32 v81, 0x3f6eb680, v47
	v_fmamk_f32 v82, v59, 0x3eb8f4ab, v81
	;; [unrolled: 4-line block ×5, first 2 shown]
	s_delay_alu instid0(VALU_DEP_1) | instskip(SKIP_2) | instid1(VALU_DEP_2)
	v_add_f32_e32 v45, v85, v45
	v_mul_f32_e32 v85, 0x3dbcf732, v122
	v_fmac_f32_e32 v76, 0x3f763a35, v37
	v_fmamk_f32 v86, v125, 0xbf7ee86f, v85
	s_delay_alu instid0(VALU_DEP_2) | instskip(NEXT) | instid1(VALU_DEP_2)
	v_add_f32_e32 v42, v76, v42
	v_add_f32_e32 v44, v86, v44
	v_mul_f32_e32 v86, 0xbf2c7751, v132
	s_delay_alu instid0(VALU_DEP_1) | instskip(NEXT) | instid1(VALU_DEP_1)
	v_fmamk_f32 v126, v133, 0x3f3d2fb0, v86
	v_dual_add_f32 v45, v126, v45 :: v_dual_mul_f32 v126, 0x3f3d2fb0, v131
	s_delay_alu instid0(VALU_DEP_1) | instskip(SKIP_1) | instid1(VALU_DEP_2)
	v_fmamk_f32 v127, v129, 0x3f2c7751, v126
	v_fmac_f32_e32 v126, 0xbf2c7751, v129
	v_dual_add_f32 v44, v127, v44 :: v_dual_mul_f32 v127, 0xbe3c28d5, v134
	s_delay_alu instid0(VALU_DEP_1) | instskip(NEXT) | instid1(VALU_DEP_1)
	v_fmamk_f32 v128, v121, 0xbf7ba420, v127
	v_dual_add_f32 v45, v128, v45 :: v_dual_mul_f32 v128, 0xbf7ba420, v78
	v_fma_f32 v75, 0x3f6eb680, v58, -v80
	s_delay_alu instid0(VALU_DEP_1) | instskip(SKIP_1) | instid1(VALU_DEP_2)
	v_dual_fmamk_f32 v130, v77, 0x3e3c28d5, v128 :: v_dual_add_f32 v43, v75, v43
	v_fmac_f32_e32 v128, 0xbe3c28d5, v77
	v_add_f32_e32 v130, v130, v44
	v_fmamk_f32 v44, v79, 0x3ee437d1, v136
	v_fmac_f32_e32 v85, 0x3f7ee86f, v125
	s_delay_alu instid0(VALU_DEP_2) | instskip(SKIP_4) | instid1(VALU_DEP_4)
	v_dual_add_f32 v44, v44, v45 :: v_dual_fmac_f32 v83, 0xbf06c442, v70
	v_fmac_f32_e32 v81, 0xbeb8f4ab, v59
	v_fmamk_f32 v45, v143, 0xbf65296c, v138
	v_fma_f32 v75, 0xbf59a7d5, v69, -v82
	v_fmac_f32_e32 v138, 0x3f65296c, v143
	v_add_f32_e32 v42, v81, v42
	s_delay_alu instid0(VALU_DEP_4) | instskip(NEXT) | instid1(VALU_DEP_4)
	v_add_f32_e32 v45, v45, v130
	v_add_f32_e32 v43, v75, v43
	v_fma_f32 v75, 0x3dbcf732, v124, -v84
	s_delay_alu instid0(VALU_DEP_4) | instskip(NEXT) | instid1(VALU_DEP_2)
	v_add_f32_e32 v42, v83, v42
	v_add_f32_e32 v43, v75, v43
	v_fma_f32 v75, 0x3f3d2fb0, v133, -v86
	s_delay_alu instid0(VALU_DEP_1) | instskip(NEXT) | instid1(VALU_DEP_1)
	v_dual_add_f32 v42, v85, v42 :: v_dual_add_f32 v43, v75, v43
	v_add_f32_e32 v42, v126, v42
	v_fma_f32 v75, 0xbf7ba420, v121, -v127
	s_delay_alu instid0(VALU_DEP_1) | instskip(NEXT) | instid1(VALU_DEP_3)
	v_add_f32_e32 v43, v75, v43
	v_add_f32_e32 v75, v128, v42
	v_fma_f32 v42, 0x3ee437d1, v79, -v136
	v_mul_f32_e32 v136, 0xbf763a35, v142
	s_delay_alu instid0(VALU_DEP_2) | instskip(NEXT) | instid1(VALU_DEP_4)
	v_add_f32_e32 v42, v42, v43
	v_add_f32_e32 v43, v138, v75
	v_mul_f32_e32 v75, 0x3f65296c, v39
	v_mul_f32_e32 v138, 0xbe8c1d8e, v144
	;; [unrolled: 1-line block ×3, first 2 shown]
	s_delay_alu instid0(VALU_DEP_3) | instskip(SKIP_1) | instid1(VALU_DEP_2)
	v_fmamk_f32 v76, v38, 0x3ee437d1, v75
	v_fma_f32 v75, 0x3ee437d1, v38, -v75
	v_dual_add_f32 v41, v76, v41 :: v_dual_mul_f32 v76, 0x3ee437d1, v36
	s_delay_alu instid0(VALU_DEP_2) | instskip(NEXT) | instid1(VALU_DEP_2)
	v_dual_add_f32 v35, v75, v35 :: v_dual_mul_f32 v36, 0x3f6eb680, v36
	v_fmamk_f32 v80, v37, 0xbf65296c, v76
	s_delay_alu instid0(VALU_DEP_1) | instskip(SKIP_1) | instid1(VALU_DEP_1)
	v_add_f32_e32 v40, v80, v40
	v_mul_f32_e32 v80, 0xbf7ee86f, v46
	v_fmamk_f32 v81, v58, 0x3dbcf732, v80
	s_delay_alu instid0(VALU_DEP_1) | instskip(SKIP_1) | instid1(VALU_DEP_1)
	v_add_f32_e32 v41, v81, v41
	v_mul_f32_e32 v81, 0x3dbcf732, v47
	v_fmamk_f32 v82, v59, 0x3f7ee86f, v81
	v_fmac_f32_e32 v81, 0xbf7ee86f, v59
	v_fma_f32 v75, 0x3dbcf732, v58, -v80
	s_delay_alu instid0(VALU_DEP_3) | instskip(SKIP_1) | instid1(VALU_DEP_3)
	v_add_f32_e32 v40, v82, v40
	v_mul_f32_e32 v82, 0x3f4c4adb, v67
	v_add_f32_e32 v35, v75, v35
	s_delay_alu instid0(VALU_DEP_2) | instskip(NEXT) | instid1(VALU_DEP_1)
	v_fmamk_f32 v83, v69, 0xbf1a4643, v82
	v_add_f32_e32 v41, v83, v41
	v_mul_f32_e32 v83, 0xbf1a4643, v68
	s_delay_alu instid0(VALU_DEP_1) | instskip(NEXT) | instid1(VALU_DEP_1)
	v_fmamk_f32 v84, v70, 0xbf4c4adb, v83
	v_add_f32_e32 v40, v84, v40
	v_mul_f32_e32 v84, 0xbeb8f4ab, v123
	s_delay_alu instid0(VALU_DEP_1) | instskip(NEXT) | instid1(VALU_DEP_1)
	;; [unrolled: 4-line block ×3, first 2 shown]
	v_fmamk_f32 v86, v125, 0x3eb8f4ab, v85
	v_dual_fmac_f32 v85, 0xbeb8f4ab, v125 :: v_dual_add_f32 v40, v86, v40
	v_mul_f32_e32 v86, 0xbe3c28d5, v132
	s_delay_alu instid0(VALU_DEP_1) | instskip(NEXT) | instid1(VALU_DEP_1)
	v_fmamk_f32 v126, v133, 0xbf7ba420, v86
	v_dual_add_f32 v41, v126, v41 :: v_dual_mul_f32 v126, 0xbf7ba420, v131
	s_delay_alu instid0(VALU_DEP_1) | instskip(SKIP_1) | instid1(VALU_DEP_2)
	v_fmamk_f32 v127, v129, 0x3e3c28d5, v126
	v_fmac_f32_e32 v126, 0xbe3c28d5, v129
	v_dual_add_f32 v40, v127, v40 :: v_dual_mul_f32 v127, 0x3f2c7751, v134
	s_delay_alu instid0(VALU_DEP_1) | instskip(NEXT) | instid1(VALU_DEP_1)
	v_fmamk_f32 v128, v121, 0x3f3d2fb0, v127
	v_dual_add_f32 v41, v128, v41 :: v_dual_mul_f32 v128, 0x3f3d2fb0, v78
	s_delay_alu instid0(VALU_DEP_1) | instskip(SKIP_1) | instid1(VALU_DEP_2)
	v_fmamk_f32 v130, v77, 0xbf2c7751, v128
	v_fmac_f32_e32 v128, 0x3f2c7751, v77
	v_add_f32_e32 v130, v130, v40
	v_fmamk_f32 v40, v79, 0xbe8c1d8e, v136
	s_delay_alu instid0(VALU_DEP_1) | instskip(SKIP_3) | instid1(VALU_DEP_3)
	v_dual_add_f32 v40, v40, v41 :: v_dual_fmac_f32 v83, 0x3f4c4adb, v70
	v_fma_f32 v75, 0xbf1a4643, v69, -v82
	v_fmamk_f32 v41, v143, 0x3f763a35, v138
	v_fmac_f32_e32 v138, 0xbf763a35, v143
	v_dual_add_f32 v35, v75, v35 :: v_dual_fmac_f32 v76, 0x3f65296c, v37
	v_fma_f32 v75, 0x3f6eb680, v124, -v84
	s_delay_alu instid0(VALU_DEP_4) | instskip(NEXT) | instid1(VALU_DEP_2)
	v_add_f32_e32 v41, v41, v130
	v_dual_add_f32 v34, v76, v34 :: v_dual_add_f32 v35, v75, v35
	v_fma_f32 v75, 0xbf7ba420, v133, -v86
	s_delay_alu instid0(VALU_DEP_1) | instskip(SKIP_1) | instid1(VALU_DEP_2)
	v_dual_add_f32 v34, v81, v34 :: v_dual_add_f32 v35, v75, v35
	v_fma_f32 v75, 0x3f3d2fb0, v121, -v127
	v_add_f32_e32 v34, v83, v34
	s_delay_alu instid0(VALU_DEP_1) | instskip(NEXT) | instid1(VALU_DEP_1)
	v_dual_add_f32 v35, v75, v35 :: v_dual_add_f32 v34, v85, v34
	v_add_f32_e32 v34, v126, v34
	s_delay_alu instid0(VALU_DEP_1) | instskip(SKIP_1) | instid1(VALU_DEP_1)
	v_add_f32_e32 v75, v128, v34
	v_fma_f32 v34, 0xbe8c1d8e, v79, -v136
	v_add_f32_e32 v34, v34, v35
	s_delay_alu instid0(VALU_DEP_3) | instskip(SKIP_4) | instid1(VALU_DEP_3)
	v_add_f32_e32 v35, v138, v75
	v_fmamk_f32 v75, v38, 0x3f6eb680, v39
	v_fma_f32 v38, 0x3f6eb680, v38, -v39
	v_fmamk_f32 v39, v37, 0xbeb8f4ab, v36
	v_fmac_f32_e32 v36, 0x3eb8f4ab, v37
	v_add_f32_e32 v32, v38, v32
	v_mul_f32_e32 v38, 0xbf59a7d5, v47
	s_delay_alu instid0(VALU_DEP_4) | instskip(NEXT) | instid1(VALU_DEP_4)
	v_add_f32_e32 v31, v39, v31
	v_dual_add_f32 v33, v36, v33 :: v_dual_mul_f32 v36, 0xbf06c442, v46
	s_delay_alu instid0(VALU_DEP_3) | instskip(SKIP_1) | instid1(VALU_DEP_3)
	v_fmamk_f32 v39, v59, 0x3f06c442, v38
	v_fmac_f32_e32 v38, 0xbf06c442, v59
	v_fmamk_f32 v37, v58, 0xbf59a7d5, v36
	v_fma_f32 v36, 0xbf59a7d5, v58, -v36
	s_delay_alu instid0(VALU_DEP_4) | instskip(NEXT) | instid1(VALU_DEP_4)
	v_add_f32_e32 v31, v39, v31
	v_dual_add_f32 v33, v38, v33 :: v_dual_mul_f32 v38, 0x3f3d2fb0, v68
	s_delay_alu instid0(VALU_DEP_1) | instskip(SKIP_1) | instid1(VALU_DEP_2)
	v_dual_add_f32 v30, v75, v30 :: v_dual_fmamk_f32 v39, v70, 0xbf2c7751, v38
	v_fmac_f32_e32 v38, 0x3f2c7751, v70
	v_dual_add_f32 v30, v37, v30 :: v_dual_add_f32 v31, v39, v31
	s_delay_alu instid0(VALU_DEP_2) | instskip(NEXT) | instid1(VALU_DEP_1)
	v_dual_add_f32 v33, v38, v33 :: v_dual_mul_f32 v38, 0xbf1a4643, v122
	v_dual_fmamk_f32 v39, v125, 0x3f4c4adb, v38 :: v_dual_add_f32 v32, v36, v32
	v_mul_f32_e32 v36, 0x3f2c7751, v67
	s_delay_alu instid0(VALU_DEP_2) | instskip(NEXT) | instid1(VALU_DEP_2)
	v_dual_fmac_f32 v38, 0xbf4c4adb, v125 :: v_dual_add_f32 v31, v39, v31
	v_fmamk_f32 v37, v69, 0x3f3d2fb0, v36
	v_fma_f32 v36, 0x3f3d2fb0, v69, -v36
	s_delay_alu instid0(VALU_DEP_3) | instskip(NEXT) | instid1(VALU_DEP_3)
	v_dual_add_f32 v33, v38, v33 :: v_dual_mul_f32 v38, 0x3ee437d1, v131
	v_add_f32_e32 v30, v37, v30
	s_delay_alu instid0(VALU_DEP_3) | instskip(SKIP_1) | instid1(VALU_DEP_4)
	v_add_f32_e32 v32, v36, v32
	v_mul_f32_e32 v36, 0xbf4c4adb, v123
	v_fmamk_f32 v39, v129, 0xbf65296c, v38
	v_fmac_f32_e32 v38, 0x3f65296c, v129
	s_delay_alu instid0(VALU_DEP_3) | instskip(SKIP_1) | instid1(VALU_DEP_4)
	v_fmamk_f32 v37, v124, 0xbf1a4643, v36
	v_fma_f32 v36, 0xbf1a4643, v124, -v36
	v_add_f32_e32 v31, v39, v31
	s_delay_alu instid0(VALU_DEP_3) | instskip(NEXT) | instid1(VALU_DEP_3)
	v_dual_add_f32 v33, v38, v33 :: v_dual_add_f32 v30, v37, v30
	v_add_f32_e32 v32, v36, v32
	v_mul_f32_e32 v36, 0x3f65296c, v132
	s_delay_alu instid0(VALU_DEP_1) | instskip(SKIP_1) | instid1(VALU_DEP_2)
	v_fmamk_f32 v37, v133, 0x3ee437d1, v36
	v_fma_f32 v36, 0x3ee437d1, v133, -v36
	v_add_f32_e32 v30, v37, v30
	s_delay_alu instid0(VALU_DEP_2) | instskip(SKIP_1) | instid1(VALU_DEP_1)
	v_add_f32_e32 v32, v36, v32
	v_mul_f32_e32 v36, 0xbf763a35, v134
	v_fmamk_f32 v37, v121, 0xbe8c1d8e, v36
	v_fma_f32 v36, 0xbe8c1d8e, v121, -v36
	s_delay_alu instid0(VALU_DEP_2) | instskip(NEXT) | instid1(VALU_DEP_2)
	v_add_f32_e32 v30, v37, v30
	v_dual_mul_f32 v37, 0xbe8c1d8e, v78 :: v_dual_add_f32 v32, v36, v32
	v_mul_f32_e32 v36, 0x3f7ee86f, v142
	s_delay_alu instid0(VALU_DEP_2) | instskip(SKIP_1) | instid1(VALU_DEP_2)
	v_fmamk_f32 v38, v77, 0x3f763a35, v37
	v_fmac_f32_e32 v37, 0xbf763a35, v77
	v_dual_add_f32 v31, v38, v31 :: v_dual_mul_f32 v38, 0x3dbcf732, v144
	s_delay_alu instid0(VALU_DEP_2) | instskip(SKIP_2) | instid1(VALU_DEP_4)
	v_add_f32_e32 v33, v37, v33
	v_fmamk_f32 v37, v79, 0x3dbcf732, v36
	v_fma_f32 v36, 0x3dbcf732, v79, -v36
	v_fmamk_f32 v39, v143, 0xbf7ee86f, v38
	v_fmac_f32_e32 v38, 0x3f7ee86f, v143
	s_delay_alu instid0(VALU_DEP_4) | instskip(NEXT) | instid1(VALU_DEP_3)
	v_add_f32_e32 v30, v37, v30
	v_dual_add_f32 v32, v36, v32 :: v_dual_add_f32 v31, v39, v31
	s_delay_alu instid0(VALU_DEP_3)
	v_add_f32_e32 v33, v38, v33
	ds_store_2addr_b64 v137, v[24:25], v[26:27] offset1:17
	ds_store_2addr_b64 v137, v[28:29], v[73:74] offset0:34 offset1:51
	ds_store_2addr_b64 v137, v[71:72], v[62:63] offset0:68 offset1:85
	;; [unrolled: 1-line block ×7, first 2 shown]
	ds_store_b64 v137, v[48:49] offset:2176
	v_add_nc_u32_e32 v28, 0x2000, v135
	v_add_nc_u32_e32 v29, 0x2c00, v135
	global_wb scope:SCOPE_SE
	s_wait_dscnt 0x0
	s_barrier_signal -1
	s_barrier_wait -1
	global_inv scope:SCOPE_SE
	ds_load_2addr_b64 v[24:27], v135 offset1:102
	ds_load_2addr_b64 v[44:47], v64 offset0:33 offset1:135
	ds_load_2addr_b64 v[40:43], v65 offset0:66 offset1:168
	ds_load_2addr_b64 v[36:39], v66 offset0:99 offset1:201
	ds_load_2addr_b64 v[32:35], v28 offset0:132 offset1:234
	ds_load_2addr_b64 v[28:31], v29 offset0:37 offset1:139
	s_and_saveexec_b32 s0, vcc_lo
	s_cbranch_execz .LBB0_7
; %bb.6:
	ds_load_b64 v[56:57], v135 offset:1632
	ds_load_b64 v[54:55], v135 offset:3944
	;; [unrolled: 1-line block ×6, first 2 shown]
.LBB0_7:
	s_wait_alu 0xfffe
	s_or_b32 exec_lo, exec_lo, s0
	s_wait_dscnt 0x4
	v_mul_f32_e32 v58, v21, v45
	s_wait_dscnt 0x3
	v_mul_f32_e32 v59, v23, v41
	v_mul_f32_e32 v23, v23, v40
	;; [unrolled: 1-line block ×3, first 2 shown]
	v_fmac_f32_e32 v58, v20, v44
	s_delay_alu instid0(VALU_DEP_4) | instskip(NEXT) | instid1(VALU_DEP_4)
	v_fmac_f32_e32 v59, v22, v40
	v_fma_f32 v22, v22, v41, -v23
	s_wait_dscnt 0x1
	v_mul_f32_e32 v23, v15, v33
	v_fma_f32 v20, v20, v45, -v21
	v_mul_f32_e32 v21, v13, v37
	v_mul_f32_e32 v13, v13, v36
	;; [unrolled: 1-line block ×3, first 2 shown]
	v_fmac_f32_e32 v23, v14, v32
	s_wait_dscnt 0x0
	v_mul_f32_e32 v32, v120, v28
	v_fmac_f32_e32 v21, v12, v36
	v_fma_f32 v12, v12, v37, -v13
	v_fma_f32 v14, v14, v33, -v15
	v_mul_f32_e32 v33, v17, v47
	v_mul_f32_e32 v15, v17, v46
	v_fma_f32 v17, v119, v29, -v32
	v_mul_f32_e32 v32, v9, v39
	v_mul_f32_e32 v9, v9, v38
	;; [unrolled: 1-line block ×5, first 2 shown]
	v_fmac_f32_e32 v32, v8, v38
	v_fma_f32 v38, v8, v39, -v9
	v_mul_f32_e32 v39, v118, v31
	v_fmac_f32_e32 v37, v10, v34
	v_mul_f32_e32 v8, v118, v30
	v_fma_f32 v34, v10, v35, -v11
	v_add_f32_e32 v10, v24, v59
	v_fma_f32 v29, v16, v47, -v15
	v_fmac_f32_e32 v39, v117, v30
	v_fma_f32 v30, v117, v31, -v8
	v_dual_add_f32 v8, v22, v14 :: v_dual_fmac_f32 v13, v119, v28
	v_dual_fmac_f32 v33, v16, v46 :: v_dual_add_f32 v16, v10, v23
	v_dual_add_f32 v10, v25, v22 :: v_dual_add_f32 v9, v59, v23
	v_dual_mul_f32 v28, v19, v43 :: v_dual_add_f32 v11, v20, v12
	s_delay_alu instid0(VALU_DEP_2)
	v_fma_f32 v15, -0.5, v9, v24
	v_sub_f32_e32 v9, v22, v14
	v_mul_f32_e32 v19, v19, v42
	v_add_f32_e32 v22, v10, v14
	v_add_f32_e32 v10, v21, v13
	v_fmac_f32_e32 v28, v18, v42
	v_add_f32_e32 v14, v58, v21
	v_fma_f32 v36, v18, v43, -v19
	v_fmamk_f32 v18, v9, 0xbf5db3d7, v15
	v_fmac_f32_e32 v58, -0.5, v10
	v_sub_f32_e32 v10, v12, v17
	v_fmac_f32_e32 v15, 0x3f5db3d7, v9
	v_add_f32_e32 v9, v12, v17
	v_fma_f32 v19, -0.5, v8, v25
	v_sub_f32_e32 v8, v59, v23
	v_add_f32_e32 v14, v14, v13
	s_delay_alu instid0(VALU_DEP_4) | instskip(SKIP_1) | instid1(VALU_DEP_4)
	v_fmac_f32_e32 v20, -0.5, v9
	v_sub_f32_e32 v9, v21, v13
	v_fmamk_f32 v23, v8, 0x3f5db3d7, v19
	v_fmac_f32_e32 v19, 0xbf5db3d7, v8
	s_delay_alu instid0(VALU_DEP_3) | instskip(NEXT) | instid1(VALU_DEP_1)
	v_fmamk_f32 v8, v9, 0x3f5db3d7, v20
	v_mul_f32_e32 v21, 0xbf5db3d7, v8
	v_dual_mul_f32 v25, 0.5, v8 :: v_dual_add_f32 v8, v16, v14
	v_fmac_f32_e32 v20, 0xbf5db3d7, v9
	v_fmamk_f32 v9, v10, 0xbf5db3d7, v58
	v_fmac_f32_e32 v58, 0x3f5db3d7, v10
	v_sub_f32_e32 v14, v16, v14
	s_delay_alu instid0(VALU_DEP_4) | instskip(SKIP_1) | instid1(VALU_DEP_2)
	v_mul_f32_e32 v24, 0xbf5db3d7, v20
	v_mul_f32_e32 v20, -0.5, v20
	v_fmac_f32_e32 v24, -0.5, v58
	s_delay_alu instid0(VALU_DEP_2) | instskip(NEXT) | instid1(VALU_DEP_2)
	v_dual_fmac_f32 v20, 0x3f5db3d7, v58 :: v_dual_add_f32 v17, v11, v17
	v_dual_add_f32 v12, v15, v24 :: v_dual_fmac_f32 v21, 0.5, v9
	s_delay_alu instid0(VALU_DEP_1)
	v_add_f32_e32 v10, v18, v21
	v_sub_f32_e32 v16, v18, v21
	v_dual_sub_f32 v18, v15, v24 :: v_dual_add_f32 v21, v28, v37
	v_dual_add_f32 v24, v33, v32 :: v_dual_fmac_f32 v25, 0x3f5db3d7, v9
	v_add_f32_e32 v9, v22, v17
	v_sub_f32_e32 v15, v22, v17
	v_add_f32_e32 v22, v26, v28
	v_fma_f32 v26, -0.5, v21, v26
	v_sub_f32_e32 v21, v36, v34
	v_add_f32_e32 v13, v19, v20
	v_dual_sub_f32 v19, v19, v20 :: v_dual_add_f32 v20, v36, v34
	v_dual_add_f32 v31, v22, v37 :: v_dual_add_f32 v22, v27, v36
	s_delay_alu instid0(VALU_DEP_4) | instskip(SKIP_1) | instid1(VALU_DEP_3)
	v_fmamk_f32 v35, v21, 0xbf5db3d7, v26
	v_dual_fmac_f32 v26, 0x3f5db3d7, v21 :: v_dual_add_f32 v21, v38, v30
	v_dual_add_f32 v11, v23, v25 :: v_dual_add_f32 v34, v22, v34
	v_dual_sub_f32 v17, v23, v25 :: v_dual_add_f32 v22, v32, v39
	v_dual_fmac_f32 v27, -0.5, v20 :: v_dual_sub_f32 v20, v28, v37
	v_add_f32_e32 v23, v29, v38
	v_dual_fmac_f32 v29, -0.5, v21 :: v_dual_add_f32 v28, v24, v39
	v_sub_f32_e32 v21, v32, v39
	v_fmac_f32_e32 v33, -0.5, v22
	v_sub_f32_e32 v22, v38, v30
	v_fmamk_f32 v36, v20, 0x3f5db3d7, v27
	v_fmac_f32_e32 v27, 0xbf5db3d7, v20
	v_fmamk_f32 v20, v21, 0x3f5db3d7, v29
	s_delay_alu instid0(VALU_DEP_1) | instskip(SKIP_4) | instid1(VALU_DEP_3)
	v_mul_f32_e32 v32, 0xbf5db3d7, v20
	v_mul_f32_e32 v39, 0.5, v20
	v_dual_add_f32 v20, v31, v28 :: v_dual_fmac_f32 v29, 0xbf5db3d7, v21
	v_dual_sub_f32 v28, v31, v28 :: v_dual_fmamk_f32 v21, v22, 0xbf5db3d7, v33
	v_fmac_f32_e32 v33, 0x3f5db3d7, v22
	v_mul_f32_e32 v37, 0xbf5db3d7, v29
	v_mul_f32_e32 v40, -0.5, v29
	s_delay_alu instid0(VALU_DEP_4) | instskip(NEXT) | instid1(VALU_DEP_3)
	v_fmac_f32_e32 v32, 0.5, v21
	v_dual_add_f32 v38, v23, v30 :: v_dual_fmac_f32 v37, -0.5, v33
	s_delay_alu instid0(VALU_DEP_2) | instskip(NEXT) | instid1(VALU_DEP_2)
	v_sub_f32_e32 v30, v35, v32
	v_dual_add_f32 v22, v35, v32 :: v_dual_sub_f32 v29, v34, v38
	s_delay_alu instid0(VALU_DEP_3) | instskip(SKIP_4) | instid1(VALU_DEP_3)
	v_add_f32_e32 v24, v26, v37
	v_sub_f32_e32 v26, v26, v37
	v_fmac_f32_e32 v40, 0x3f5db3d7, v33
	v_fmac_f32_e32 v39, 0x3f5db3d7, v21
	v_add_f32_e32 v21, v34, v38
	v_add_f32_e32 v25, v27, v40
	s_delay_alu instid0(VALU_DEP_3)
	v_add_f32_e32 v23, v36, v39
	v_sub_f32_e32 v31, v36, v39
	v_sub_f32_e32 v27, v27, v40
	ds_store_b64 v135, v[10:11] offset:2312
	ds_store_b64 v135, v[12:13] offset:4624
	;; [unrolled: 1-line block ×5, first 2 shown]
	ds_store_2addr_b64 v135, v[8:9], v[20:21] offset1:102
	ds_store_b64 v135, v[22:23] offset:3128
	ds_store_b64 v135, v[24:25] offset:5440
	;; [unrolled: 1-line block ×5, first 2 shown]
	s_and_saveexec_b32 s0, vcc_lo
	s_cbranch_execz .LBB0_9
; %bb.8:
	v_dual_mul_f32 v8, v7, v52 :: v_dual_mul_f32 v11, v1, v51
	v_dual_mul_f32 v9, v3, v48 :: v_dual_mul_f32 v10, v1, v50
	;; [unrolled: 1-line block ×3, first 2 shown]
	v_mul_f32_e32 v1, v116, v60
	s_delay_alu instid0(VALU_DEP_4) | instskip(NEXT) | instid1(VALU_DEP_4)
	v_fma_f32 v8, v6, v53, -v8
	v_fma_f32 v9, v2, v49, -v9
	v_dual_mul_f32 v12, v116, v61 :: v_dual_mul_f32 v15, v5, v55
	v_fma_f32 v10, v0, v51, -v10
	v_fmac_f32_e32 v11, v0, v50
	v_fma_f32 v0, v4, v55, -v14
	v_mul_f32_e32 v14, v3, v49
	v_fma_f32 v1, v115, v61, -v1
	v_dual_add_f32 v13, v8, v9 :: v_dual_fmac_f32 v12, v115, v60
	v_fmac_f32_e32 v7, v6, v52
	s_delay_alu instid0(VALU_DEP_4) | instskip(NEXT) | instid1(VALU_DEP_4)
	v_fmac_f32_e32 v14, v2, v48
	v_add_f32_e32 v5, v10, v1
	v_fmac_f32_e32 v15, v4, v54
	v_fma_f32 v13, -0.5, v13, v57
	s_delay_alu instid0(VALU_DEP_4) | instskip(NEXT) | instid1(VALU_DEP_4)
	v_sub_f32_e32 v16, v7, v14
	v_fma_f32 v4, -0.5, v5, v0
	v_sub_f32_e32 v5, v11, v12
	v_dual_add_f32 v3, v11, v12 :: v_dual_add_f32 v0, v0, v10
	s_delay_alu instid0(VALU_DEP_2) | instskip(SKIP_1) | instid1(VALU_DEP_3)
	v_fmamk_f32 v6, v5, 0xbf5db3d7, v4
	v_fmac_f32_e32 v4, 0x3f5db3d7, v5
	v_fma_f32 v2, -0.5, v3, v15
	v_sub_f32_e32 v3, v10, v1
	s_delay_alu instid0(VALU_DEP_4) | instskip(NEXT) | instid1(VALU_DEP_4)
	v_dual_add_f32 v21, v0, v1 :: v_dual_mul_f32 v18, -0.5, v6
	v_dual_mul_f32 v20, 0.5, v4 :: v_dual_add_f32 v5, v7, v14
	s_delay_alu instid0(VALU_DEP_3) | instskip(SKIP_2) | instid1(VALU_DEP_3)
	v_fmamk_f32 v17, v3, 0x3f5db3d7, v2
	v_dual_fmac_f32 v2, 0xbf5db3d7, v3 :: v_dual_add_f32 v3, v57, v8
	v_fmamk_f32 v19, v16, 0xbf5db3d7, v13
	v_dual_fmac_f32 v13, 0x3f5db3d7, v16 :: v_dual_fmac_f32 v18, 0x3f5db3d7, v17
	s_delay_alu instid0(VALU_DEP_3)
	v_fmac_f32_e32 v20, 0x3f5db3d7, v2
	v_sub_f32_e32 v8, v8, v9
	v_fma_f32 v16, -0.5, v5, v56
	v_mul_f32_e32 v6, 0xbf5db3d7, v6
	v_add_f32_e32 v10, v3, v9
	v_sub_f32_e32 v1, v19, v18
	s_delay_alu instid0(VALU_DEP_4) | instskip(NEXT) | instid1(VALU_DEP_4)
	v_dual_sub_f32 v3, v13, v20 :: v_dual_fmamk_f32 v22, v8, 0x3f5db3d7, v16
	v_dual_fmac_f32 v6, -0.5, v17 :: v_dual_add_f32 v7, v56, v7
	v_add_f32_e32 v9, v15, v11
	v_dual_sub_f32 v5, v10, v21 :: v_dual_fmac_f32 v16, 0xbf5db3d7, v8
	s_delay_alu instid0(VALU_DEP_3) | instskip(NEXT) | instid1(VALU_DEP_4)
	v_dual_sub_f32 v0, v22, v6 :: v_dual_mul_f32 v15, 0xbf5db3d7, v4
	v_add_f32_e32 v4, v7, v14
	s_delay_alu instid0(VALU_DEP_4) | instskip(SKIP_1) | instid1(VALU_DEP_4)
	v_add_f32_e32 v12, v9, v12
	v_dual_add_f32 v9, v13, v20 :: v_dual_add_f32 v6, v22, v6
	v_fmac_f32_e32 v15, 0.5, v2
	s_delay_alu instid0(VALU_DEP_3) | instskip(SKIP_1) | instid1(VALU_DEP_3)
	v_dual_add_f32 v11, v10, v21 :: v_dual_add_f32 v10, v4, v12
	v_dual_sub_f32 v4, v4, v12 :: v_dual_add_f32 v7, v19, v18
	v_add_f32_e32 v8, v16, v15
	v_sub_f32_e32 v2, v16, v15
	ds_store_b64 v135, v[10:11] offset:1632
	ds_store_b64 v135, v[8:9] offset:3944
	;; [unrolled: 1-line block ×6, first 2 shown]
.LBB0_9:
	s_wait_alu 0xfffe
	s_or_b32 exec_lo, exec_lo, s0
	global_wb scope:SCOPE_SE
	s_wait_dscnt 0x0
	s_barrier_signal -1
	s_barrier_wait -1
	global_inv scope:SCOPE_SE
	s_clause 0x1
	scratch_load_b64 v[4:5], off, off offset:4 th:TH_LOAD_LU
	scratch_load_b32 v34, off, off th:TH_LOAD_LU
	ds_load_2addr_b64 v[0:3], v135 offset1:102
	s_mov_b32 s0, 0x8b5e3104
	s_mov_b32 s1, 0x3f42e5b8
	v_add_nc_u32_e32 v51, 0x2800, v135
	s_wait_dscnt 0x0
	v_dual_mul_f32 v14, v108, v1 :: v_dual_add_nc_u32 v13, 0x1800, v135
	v_mul_f32_e32 v17, v114, v3
	v_dual_mul_f32 v15, v108, v0 :: v_dual_mul_f32 v18, v114, v2
	s_delay_alu instid0(VALU_DEP_2)
	v_dual_fmac_f32 v17, v113, v2 :: v_dual_add_nc_u32 v8, 0x800, v135
	ds_load_2addr_b64 v[8:11], v8 offset0:152 offset1:254
	v_add_nc_u32_e32 v50, 0x2400, v135
	v_cvt_f64_f32_e32 v[28:29], v17
	s_wait_dscnt 0x0
	v_mul_f32_e32 v35, v94, v8
	s_wait_alu 0xfffe
	s_delay_alu instid0(VALU_DEP_2)
	v_mul_f64_e32 v[28:29], s[0:1], v[28:29]
	s_wait_loadcnt 0x1
	v_mov_b32_e32 v32, v4
	s_wait_loadcnt 0x0
	v_mad_co_u64_u32 v[22:23], null, s4, v34, 0
	v_add_nc_u32_e32 v4, 0x400, v135
	s_delay_alu instid0(VALU_DEP_3)
	v_mad_co_u64_u32 v[20:21], null, s6, v32, 0
	ds_load_2addr_b64 v[4:7], v4 offset0:76 offset1:178
	v_add_nc_u32_e32 v12, 0x1000, v135
	v_add_nc_u32_e32 v16, 0x1c00, v135
	v_mad_co_u64_u32 v[32:33], null, s7, v32, v[21:22]
	v_fmac_f32_e32 v14, v107, v0
	v_fma_f32 v0, v107, v1, -v15
	v_fma_f32 v1, v113, v3, -v18
	s_delay_alu instid0(VALU_DEP_3) | instskip(NEXT) | instid1(VALU_DEP_3)
	v_cvt_f64_f32_e32 v[24:25], v14
	v_cvt_f64_f32_e32 v[26:27], v0
	s_delay_alu instid0(VALU_DEP_3)
	v_cvt_f64_f32_e32 v[30:31], v1
	ds_load_2addr_b64 v[0:3], v12 offset0:100 offset1:202
	ds_load_2addr_b64 v[12:15], v13 offset0:48 offset1:150
	;; [unrolled: 1-line block ×3, first 2 shown]
	s_clause 0x1
	scratch_load_b64 v[37:38], off, off offset:12 th:TH_LOAD_LU
	scratch_load_b64 v[39:40], off, off offset:20 th:TH_LOAD_LU
	v_mul_f32_e32 v46, v98, v11
	v_mul_f32_e32 v36, v98, v10
	;; [unrolled: 1-line block ×3, first 2 shown]
	s_wait_dscnt 0x1
	s_delay_alu instid0(VALU_DEP_1) | instskip(SKIP_3) | instid1(VALU_DEP_3)
	v_dual_fmac_f32 v42, v93, v8 :: v_dual_mul_f32 v55, v102, v14
	v_mul_f32_e32 v53, v104, v12
	s_wait_dscnt 0x0
	v_mul_f32_e32 v58, v100, v19
	v_cvt_f64_f32_e32 v[42:43], v42
	v_mul_f32_e32 v57, v106, v16
	v_mul_f32_e32 v59, v100, v18
	v_fma_f32 v53, v103, v13, -v53
	v_fmac_f32_e32 v58, v99, v18
	v_mad_co_u64_u32 v[33:34], null, s5, v34, v[23:24]
	v_mul_f64_e32 v[24:25], s[0:1], v[24:25]
	v_mul_f64_e32 v[26:27], s[0:1], v[26:27]
	;; [unrolled: 1-line block ×3, first 2 shown]
	s_mul_u64 s[4:5], s[4:5], 0x330
	s_delay_alu instid0(VALU_DEP_3) | instskip(NEXT) | instid1(VALU_DEP_3)
	v_cvt_f32_f64_e32 v24, v[24:25]
	v_cvt_f32_f64_e32 v25, v[26:27]
	;; [unrolled: 1-line block ×3, first 2 shown]
	s_delay_alu instid0(VALU_DEP_4) | instskip(SKIP_4) | instid1(VALU_DEP_2)
	v_cvt_f32_f64_e32 v27, v[30:31]
	s_wait_loadcnt 0x1
	v_mul_f32_e32 v21, v38, v5
	s_wait_loadcnt 0x0
	v_dual_mul_f32 v23, v38, v4 :: v_dual_mul_f32 v38, v40, v7
	v_dual_mul_f32 v34, v40, v6 :: v_dual_fmac_f32 v21, v37, v4
	s_delay_alu instid0(VALU_DEP_2) | instskip(NEXT) | instid1(VALU_DEP_3)
	v_fma_f32 v4, v37, v5, -v23
	v_dual_mov_b32 v23, v33 :: v_dual_fmac_f32 v38, v39, v6
	s_delay_alu instid0(VALU_DEP_3)
	v_fma_f32 v5, v39, v7, -v34
	v_mul_f32_e32 v33, v96, v2
	v_fmac_f32_e32 v46, v97, v10
	v_fma_f32 v6, v93, v9, -v35
	v_fma_f32 v7, v97, v11, -v36
	v_cvt_f64_f32_e32 v[34:35], v21
	v_cvt_f64_f32_e32 v[36:37], v4
	;; [unrolled: 1-line block ×7, first 2 shown]
	ds_load_2addr_b64 v[4:7], v50 offset0:72 offset1:174
	ds_load_2addr_b64 v[8:11], v51 offset0:148 offset1:250
	v_dual_mov_b32 v21, v32 :: v_dual_mul_f32 v50, v90, v1
	v_dual_mul_f32 v51, v96, v3 :: v_dual_mul_f32 v32, v90, v0
	v_mul_f32_e32 v52, v104, v13
	v_fma_f32 v61, v95, v3, -v33
	s_delay_alu instid0(VALU_DEP_3) | instskip(NEXT) | instid1(VALU_DEP_4)
	v_dual_fmac_f32 v50, v89, v0 :: v_dual_fmac_f32 v51, v95, v2
	v_fma_f32 v60, v89, v1, -v32
	s_delay_alu instid0(VALU_DEP_4)
	v_fmac_f32_e32 v52, v103, v12
	v_lshlrev_b64_e32 v[20:21], 3, v[20:21]
	v_lshlrev_b64_e32 v[22:23], 3, v[22:23]
	v_mul_f32_e32 v54, v102, v15
	v_cvt_f64_f32_e32 v[28:29], v61
	v_cvt_f64_f32_e32 v[30:31], v52
	v_add_co_u32 v18, vcc_lo, s2, v20
	v_mul_f64_e32 v[0:1], s[0:1], v[34:35]
	v_mul_f64_e32 v[2:3], s[0:1], v[36:37]
	;; [unrolled: 1-line block ×6, first 2 shown]
	s_wait_alu 0xfffd
	v_add_co_ci_u32_e32 v44, vcc_lo, s3, v21, vcc_lo
	v_add_co_u32 v22, vcc_lo, v18, v22
	v_mul_f64_e32 v[40:41], s[0:1], v[48:49]
	s_wait_alu 0xfffd
	s_delay_alu instid0(VALU_DEP_3)
	v_add_co_ci_u32_e32 v23, vcc_lo, v44, v23, vcc_lo
	s_wait_alu 0xfffe
	v_add_co_u32 v46, vcc_lo, v22, s4
	v_fma_f32 v48, v101, v15, -v55
	s_wait_alu 0xfffd
	v_add_co_ci_u32_e32 v47, vcc_lo, s5, v23, vcc_lo
	s_clause 0x1
	global_store_b64 v[22:23], v[24:25], off
	global_store_b64 v[46:47], v[26:27], off
	v_cvt_f64_f32_e32 v[20:21], v51
	ds_load_b64 v[26:27], v135 offset:13056
	v_mul_f64_e32 v[34:35], s[0:1], v[42:43]
	v_mul_f32_e32 v56, v106, v17
	v_fma_f32 v55, v105, v17, -v57
	v_cvt_f64_f32_e32 v[42:43], v53
	v_cvt_f64_f32_e32 v[48:49], v48
	;; [unrolled: 1-line block ×3, first 2 shown]
	v_mul_f64_e32 v[28:29], s[0:1], v[28:29]
	v_cvt_f64_f32_e32 v[22:23], v55
	v_mul_f64_e32 v[30:31], s[0:1], v[30:31]
	v_cvt_f32_f64_e32 v0, v[0:1]
	v_cvt_f32_f64_e32 v1, v[2:3]
	v_cvt_f32_f64_e32 v2, v[12:13]
	v_cvt_f32_f64_e32 v3, v[32:33]
	s_wait_dscnt 0x0
	v_mul_f32_e32 v53, v112, v26
	v_cvt_f32_f64_e32 v32, v[38:39]
	v_mul_f32_e32 v39, v92, v6
	v_fmac_f32_e32 v54, v101, v14
	v_cvt_f64_f32_e32 v[14:15], v50
	v_add_co_u32 v50, vcc_lo, v46, s4
	s_wait_alu 0xfffd
	v_add_co_ci_u32_e32 v51, vcc_lo, s5, v47, vcc_lo
	scratch_load_b64 v[46:47], off, off offset:28 th:TH_LOAD_LU ; 8-byte Folded Reload
	v_fmac_f32_e32 v56, v105, v16
	v_cvt_f64_f32_e32 v[16:17], v60
	v_cvt_f64_f32_e32 v[44:45], v54
	v_cvt_f32_f64_e32 v33, v[40:41]
	v_mul_f32_e32 v40, v88, v9
	v_cvt_f32_f64_e32 v13, v[36:37]
	v_mul_f32_e32 v38, v92, v7
	v_mul_f32_e32 v52, v112, v27
	v_fma_f32 v39, v91, v7, -v39
	v_cvt_f32_f64_e32 v12, v[34:35]
	v_fma_f32 v34, v99, v19, -v59
	v_cvt_f64_f32_e32 v[18:19], v56
	v_fmac_f32_e32 v40, v87, v8
	v_mul_f32_e32 v8, v88, v8
	v_fmac_f32_e32 v38, v91, v6
	v_cvt_f64_f32_e32 v[34:35], v34
	v_fmac_f32_e32 v52, v111, v26
	v_fma_f32 v53, v111, v27, -v53
	v_fma_f32 v8, v87, v9, -v8
	v_cvt_f64_f32_e32 v[40:41], v40
	v_mul_f64_e32 v[20:21], s[0:1], v[20:21]
	v_add_co_u32 v54, vcc_lo, v50, s4
	s_delay_alu instid0(VALU_DEP_4)
	v_cvt_f64_f32_e32 v[8:9], v8
	s_wait_alu 0xfffd
	v_add_co_ci_u32_e32 v55, vcc_lo, s5, v51, vcc_lo
	v_mul_f64_e32 v[42:43], s[0:1], v[42:43]
	v_mul_f64_e32 v[48:49], s[0:1], v[48:49]
	v_add_co_u32 v56, vcc_lo, v54, s4
	s_wait_alu 0xfffd
	v_add_co_ci_u32_e32 v57, vcc_lo, s5, v55, vcc_lo
	v_mul_f64_e32 v[14:15], s[0:1], v[14:15]
	v_mul_f64_e32 v[22:23], s[0:1], v[22:23]
	v_add_co_u32 v58, vcc_lo, v56, s4
	s_wait_alu 0xfffd
	v_add_co_ci_u32_e32 v59, vcc_lo, s5, v57, vcc_lo
	s_clause 0x2
	global_store_b64 v[50:51], v[0:1], off
	global_store_b64 v[54:55], v[2:3], off
	;; [unrolled: 1-line block ×4, first 2 shown]
	v_mul_f64_e32 v[16:17], s[0:1], v[16:17]
	v_mul_f64_e32 v[44:45], s[0:1], v[44:45]
	;; [unrolled: 1-line block ×4, first 2 shown]
	v_cvt_f32_f64_e32 v30, v[30:31]
	v_mul_f64_e32 v[2:3], s[0:1], v[34:35]
	v_mul_f64_e32 v[32:33], s[0:1], v[40:41]
	v_cvt_f32_f64_e32 v20, v[20:21]
	v_cvt_f32_f64_e32 v21, v[28:29]
	v_mul_f64_e32 v[8:9], s[0:1], v[8:9]
	v_cvt_f32_f64_e32 v31, v[42:43]
	v_cvt_f32_f64_e32 v41, v[48:49]
	;; [unrolled: 1-line block ×4, first 2 shown]
	v_add_co_u32 v16, vcc_lo, v58, s4
	s_wait_alu 0xfffd
	v_add_co_ci_u32_e32 v17, vcc_lo, s5, v59, vcc_lo
	v_cvt_f32_f64_e32 v40, v[44:45]
	s_delay_alu instid0(VALU_DEP_3) | instskip(SKIP_1) | instid1(VALU_DEP_3)
	v_add_co_u32 v28, vcc_lo, v16, s4
	s_wait_alu 0xfffd
	v_add_co_ci_u32_e32 v29, vcc_lo, s5, v17, vcc_lo
	v_cvt_f32_f64_e32 v18, v[18:19]
	v_cvt_f32_f64_e32 v19, v[22:23]
	;; [unrolled: 1-line block ×4, first 2 shown]
	global_store_b64 v[16:17], v[14:15], off
	global_store_b64 v[28:29], v[20:21], off
	s_wait_loadcnt 0x0
	v_mul_f32_e32 v36, v47, v5
	v_mul_f32_e32 v37, v47, v4
	;; [unrolled: 1-line block ×3, first 2 shown]
	s_delay_alu instid0(VALU_DEP_3) | instskip(NEXT) | instid1(VALU_DEP_3)
	v_fmac_f32_e32 v36, v46, v4
	v_fma_f32 v37, v46, v5, -v37
	v_mul_f32_e32 v46, v110, v11
	s_delay_alu instid0(VALU_DEP_4) | instskip(NEXT) | instid1(VALU_DEP_4)
	v_fma_f32 v47, v109, v11, -v47
	v_cvt_f64_f32_e32 v[4:5], v36
	s_delay_alu instid0(VALU_DEP_4) | instskip(NEXT) | instid1(VALU_DEP_4)
	v_cvt_f64_f32_e32 v[6:7], v37
	v_fmac_f32_e32 v46, v109, v10
	v_cvt_f64_f32_e32 v[36:37], v38
	v_cvt_f64_f32_e32 v[38:39], v39
	;; [unrolled: 1-line block ×3, first 2 shown]
	s_delay_alu instid0(VALU_DEP_4)
	v_cvt_f64_f32_e32 v[10:11], v46
	v_cvt_f64_f32_e32 v[46:47], v52
	;; [unrolled: 1-line block ×3, first 2 shown]
	v_mul_f64_e32 v[4:5], s[0:1], v[4:5]
	v_mul_f64_e32 v[6:7], s[0:1], v[6:7]
	;; [unrolled: 1-line block ×5, first 2 shown]
	v_add_co_u32 v38, vcc_lo, v28, s4
	v_mul_f64_e32 v[10:11], s[0:1], v[10:11]
	v_mul_f64_e32 v[34:35], s[0:1], v[46:47]
	;; [unrolled: 1-line block ×3, first 2 shown]
	s_wait_alu 0xfffd
	v_add_co_ci_u32_e32 v39, vcc_lo, s5, v29, vcc_lo
	v_add_co_u32 v22, vcc_lo, v38, s4
	s_wait_alu 0xfffd
	s_delay_alu instid0(VALU_DEP_2)
	v_add_co_ci_u32_e32 v23, vcc_lo, s5, v39, vcc_lo
	global_store_b64 v[38:39], v[30:31], off
	global_store_b64 v[22:23], v[40:41], off
	v_cvt_f32_f64_e32 v2, v[4:5]
	v_cvt_f32_f64_e32 v3, v[6:7]
	;; [unrolled: 1-line block ×7, first 2 shown]
	v_add_co_u32 v12, vcc_lo, v22, s4
	v_cvt_f32_f64_e32 v8, v[10:11]
	v_cvt_f32_f64_e32 v10, v[34:35]
	;; [unrolled: 1-line block ×3, first 2 shown]
	s_wait_alu 0xfffd
	v_add_co_ci_u32_e32 v13, vcc_lo, s5, v23, vcc_lo
	v_add_co_u32 v14, vcc_lo, v12, s4
	s_wait_alu 0xfffd
	s_delay_alu instid0(VALU_DEP_2) | instskip(NEXT) | instid1(VALU_DEP_2)
	v_add_co_ci_u32_e32 v15, vcc_lo, s5, v13, vcc_lo
	v_add_co_u32 v16, vcc_lo, v14, s4
	global_store_b64 v[12:13], v[18:19], off
	s_wait_alu 0xfffd
	v_add_co_ci_u32_e32 v17, vcc_lo, s5, v15, vcc_lo
	v_add_co_u32 v20, vcc_lo, v16, s4
	global_store_b64 v[14:15], v[0:1], off
	s_wait_alu 0xfffd
	v_add_co_ci_u32_e32 v21, vcc_lo, s5, v17, vcc_lo
	v_add_co_u32 v22, vcc_lo, v20, s4
	s_wait_alu 0xfffd
	s_delay_alu instid0(VALU_DEP_2) | instskip(NEXT) | instid1(VALU_DEP_2)
	v_add_co_ci_u32_e32 v23, vcc_lo, s5, v21, vcc_lo
	v_add_co_u32 v12, vcc_lo, v22, s4
	s_wait_alu 0xfffd
	s_delay_alu instid0(VALU_DEP_2) | instskip(NEXT) | instid1(VALU_DEP_2)
	v_add_co_ci_u32_e32 v13, vcc_lo, s5, v23, vcc_lo
	v_add_co_u32 v0, vcc_lo, v12, s4
	s_wait_alu 0xfffd
	s_delay_alu instid0(VALU_DEP_2)
	v_add_co_ci_u32_e32 v1, vcc_lo, s5, v13, vcc_lo
	global_store_b64 v[16:17], v[2:3], off
	global_store_b64 v[20:21], v[4:5], off
	;; [unrolled: 1-line block ×5, first 2 shown]
.LBB0_10:
	s_nop 0
	s_sendmsg sendmsg(MSG_DEALLOC_VGPRS)
	s_endpgm
	.section	.rodata,"a",@progbits
	.p2align	6, 0x0
	.amdhsa_kernel bluestein_single_back_len1734_dim1_sp_op_CI_CI
		.amdhsa_group_segment_fixed_size 13872
		.amdhsa_private_segment_fixed_size 40
		.amdhsa_kernarg_size 104
		.amdhsa_user_sgpr_count 2
		.amdhsa_user_sgpr_dispatch_ptr 0
		.amdhsa_user_sgpr_queue_ptr 0
		.amdhsa_user_sgpr_kernarg_segment_ptr 1
		.amdhsa_user_sgpr_dispatch_id 0
		.amdhsa_user_sgpr_private_segment_size 0
		.amdhsa_wavefront_size32 1
		.amdhsa_uses_dynamic_stack 0
		.amdhsa_enable_private_segment 1
		.amdhsa_system_sgpr_workgroup_id_x 1
		.amdhsa_system_sgpr_workgroup_id_y 0
		.amdhsa_system_sgpr_workgroup_id_z 0
		.amdhsa_system_sgpr_workgroup_info 0
		.amdhsa_system_vgpr_workitem_id 0
		.amdhsa_next_free_vgpr 256
		.amdhsa_next_free_sgpr 20
		.amdhsa_reserve_vcc 1
		.amdhsa_float_round_mode_32 0
		.amdhsa_float_round_mode_16_64 0
		.amdhsa_float_denorm_mode_32 3
		.amdhsa_float_denorm_mode_16_64 3
		.amdhsa_fp16_overflow 0
		.amdhsa_workgroup_processor_mode 1
		.amdhsa_memory_ordered 1
		.amdhsa_forward_progress 0
		.amdhsa_round_robin_scheduling 0
		.amdhsa_exception_fp_ieee_invalid_op 0
		.amdhsa_exception_fp_denorm_src 0
		.amdhsa_exception_fp_ieee_div_zero 0
		.amdhsa_exception_fp_ieee_overflow 0
		.amdhsa_exception_fp_ieee_underflow 0
		.amdhsa_exception_fp_ieee_inexact 0
		.amdhsa_exception_int_div_zero 0
	.end_amdhsa_kernel
	.text
.Lfunc_end0:
	.size	bluestein_single_back_len1734_dim1_sp_op_CI_CI, .Lfunc_end0-bluestein_single_back_len1734_dim1_sp_op_CI_CI
                                        ; -- End function
	.section	.AMDGPU.csdata,"",@progbits
; Kernel info:
; codeLenInByte = 29792
; NumSgprs: 22
; NumVgprs: 256
; ScratchSize: 40
; MemoryBound: 0
; FloatMode: 240
; IeeeMode: 1
; LDSByteSize: 13872 bytes/workgroup (compile time only)
; SGPRBlocks: 2
; VGPRBlocks: 31
; NumSGPRsForWavesPerEU: 22
; NumVGPRsForWavesPerEU: 256
; Occupancy: 5
; WaveLimiterHint : 1
; COMPUTE_PGM_RSRC2:SCRATCH_EN: 1
; COMPUTE_PGM_RSRC2:USER_SGPR: 2
; COMPUTE_PGM_RSRC2:TRAP_HANDLER: 0
; COMPUTE_PGM_RSRC2:TGID_X_EN: 1
; COMPUTE_PGM_RSRC2:TGID_Y_EN: 0
; COMPUTE_PGM_RSRC2:TGID_Z_EN: 0
; COMPUTE_PGM_RSRC2:TIDIG_COMP_CNT: 0
	.text
	.p2alignl 7, 3214868480
	.fill 96, 4, 3214868480
	.type	__hip_cuid_bef5cb87b7167bd4,@object ; @__hip_cuid_bef5cb87b7167bd4
	.section	.bss,"aw",@nobits
	.globl	__hip_cuid_bef5cb87b7167bd4
__hip_cuid_bef5cb87b7167bd4:
	.byte	0                               ; 0x0
	.size	__hip_cuid_bef5cb87b7167bd4, 1

	.ident	"AMD clang version 19.0.0git (https://github.com/RadeonOpenCompute/llvm-project roc-6.4.0 25133 c7fe45cf4b819c5991fe208aaa96edf142730f1d)"
	.section	".note.GNU-stack","",@progbits
	.addrsig
	.addrsig_sym __hip_cuid_bef5cb87b7167bd4
	.amdgpu_metadata
---
amdhsa.kernels:
  - .args:
      - .actual_access:  read_only
        .address_space:  global
        .offset:         0
        .size:           8
        .value_kind:     global_buffer
      - .actual_access:  read_only
        .address_space:  global
        .offset:         8
        .size:           8
        .value_kind:     global_buffer
      - .actual_access:  read_only
        .address_space:  global
        .offset:         16
        .size:           8
        .value_kind:     global_buffer
      - .actual_access:  read_only
        .address_space:  global
        .offset:         24
        .size:           8
        .value_kind:     global_buffer
      - .actual_access:  read_only
        .address_space:  global
        .offset:         32
        .size:           8
        .value_kind:     global_buffer
      - .offset:         40
        .size:           8
        .value_kind:     by_value
      - .address_space:  global
        .offset:         48
        .size:           8
        .value_kind:     global_buffer
      - .address_space:  global
        .offset:         56
        .size:           8
        .value_kind:     global_buffer
      - .address_space:  global
        .offset:         64
        .size:           8
        .value_kind:     global_buffer
      - .address_space:  global
        .offset:         72
        .size:           8
        .value_kind:     global_buffer
      - .offset:         80
        .size:           4
        .value_kind:     by_value
      - .address_space:  global
        .offset:         88
        .size:           8
        .value_kind:     global_buffer
      - .address_space:  global
        .offset:         96
        .size:           8
        .value_kind:     global_buffer
    .group_segment_fixed_size: 13872
    .kernarg_segment_align: 8
    .kernarg_segment_size: 104
    .language:       OpenCL C
    .language_version:
      - 2
      - 0
    .max_flat_workgroup_size: 102
    .name:           bluestein_single_back_len1734_dim1_sp_op_CI_CI
    .private_segment_fixed_size: 40
    .sgpr_count:     22
    .sgpr_spill_count: 0
    .symbol:         bluestein_single_back_len1734_dim1_sp_op_CI_CI.kd
    .uniform_work_group_size: 1
    .uses_dynamic_stack: false
    .vgpr_count:     256
    .vgpr_spill_count: 9
    .wavefront_size: 32
    .workgroup_processor_mode: 1
amdhsa.target:   amdgcn-amd-amdhsa--gfx1201
amdhsa.version:
  - 1
  - 2
...

	.end_amdgpu_metadata
